;; amdgpu-corpus repo=ROCm/rocFFT kind=compiled arch=gfx1100 opt=O3
	.text
	.amdgcn_target "amdgcn-amd-amdhsa--gfx1100"
	.amdhsa_code_object_version 6
	.protected	fft_rtc_back_len1512_factors_2_2_2_3_3_3_7_wgs_63_tpt_63_halfLds_dp_op_CI_CI_unitstride_sbrr_dirReg ; -- Begin function fft_rtc_back_len1512_factors_2_2_2_3_3_3_7_wgs_63_tpt_63_halfLds_dp_op_CI_CI_unitstride_sbrr_dirReg
	.globl	fft_rtc_back_len1512_factors_2_2_2_3_3_3_7_wgs_63_tpt_63_halfLds_dp_op_CI_CI_unitstride_sbrr_dirReg
	.p2align	8
	.type	fft_rtc_back_len1512_factors_2_2_2_3_3_3_7_wgs_63_tpt_63_halfLds_dp_op_CI_CI_unitstride_sbrr_dirReg,@function
fft_rtc_back_len1512_factors_2_2_2_3_3_3_7_wgs_63_tpt_63_halfLds_dp_op_CI_CI_unitstride_sbrr_dirReg: ; @fft_rtc_back_len1512_factors_2_2_2_3_3_3_7_wgs_63_tpt_63_halfLds_dp_op_CI_CI_unitstride_sbrr_dirReg
; %bb.0:
	s_clause 0x2
	s_load_b128 s[4:7], s[0:1], 0x0
	s_load_b128 s[8:11], s[0:1], 0x58
	;; [unrolled: 1-line block ×3, first 2 shown]
	v_mul_u32_u24_e32 v1, 0x411, v0
	v_mov_b32_e32 v4, 0
	v_mov_b32_e32 v5, 0
	s_delay_alu instid0(VALU_DEP_3) | instskip(NEXT) | instid1(VALU_DEP_1)
	v_lshrrev_b32_e32 v2, 16, v1
	v_dual_mov_b32 v1, 0 :: v_dual_add_nc_u32 v6, s15, v2
	s_delay_alu instid0(VALU_DEP_1) | instskip(SKIP_2) | instid1(VALU_DEP_1)
	v_mov_b32_e32 v7, v1
	s_waitcnt lgkmcnt(0)
	v_cmp_lt_u64_e64 s2, s[6:7], 2
	s_and_b32 vcc_lo, exec_lo, s2
	s_cbranch_vccnz .LBB0_8
; %bb.1:
	s_load_b64 s[2:3], s[0:1], 0x10
	v_mov_b32_e32 v4, 0
	v_mov_b32_e32 v5, 0
	s_add_u32 s12, s18, 8
	s_addc_u32 s13, s19, 0
	s_add_u32 s14, s16, 8
	s_addc_u32 s15, s17, 0
	v_dual_mov_b32 v177, v5 :: v_dual_mov_b32 v176, v4
	s_mov_b64 s[22:23], 1
	s_waitcnt lgkmcnt(0)
	s_add_u32 s20, s2, 8
	s_addc_u32 s21, s3, 0
.LBB0_2:                                ; =>This Inner Loop Header: Depth=1
	s_load_b64 s[24:25], s[20:21], 0x0
                                        ; implicit-def: $vgpr178_vgpr179
	s_mov_b32 s2, exec_lo
	s_waitcnt lgkmcnt(0)
	v_or_b32_e32 v2, s25, v7
	s_delay_alu instid0(VALU_DEP_1)
	v_cmpx_ne_u64_e32 0, v[1:2]
	s_xor_b32 s3, exec_lo, s2
	s_cbranch_execz .LBB0_4
; %bb.3:                                ;   in Loop: Header=BB0_2 Depth=1
	v_cvt_f32_u32_e32 v2, s24
	v_cvt_f32_u32_e32 v3, s25
	s_sub_u32 s2, 0, s24
	s_subb_u32 s26, 0, s25
	s_delay_alu instid0(VALU_DEP_1) | instskip(NEXT) | instid1(VALU_DEP_1)
	v_fmac_f32_e32 v2, 0x4f800000, v3
	v_rcp_f32_e32 v2, v2
	s_waitcnt_depctr 0xfff
	v_mul_f32_e32 v2, 0x5f7ffffc, v2
	s_delay_alu instid0(VALU_DEP_1) | instskip(NEXT) | instid1(VALU_DEP_1)
	v_mul_f32_e32 v3, 0x2f800000, v2
	v_trunc_f32_e32 v3, v3
	s_delay_alu instid0(VALU_DEP_1) | instskip(SKIP_1) | instid1(VALU_DEP_2)
	v_fmac_f32_e32 v2, 0xcf800000, v3
	v_cvt_u32_f32_e32 v3, v3
	v_cvt_u32_f32_e32 v2, v2
	s_delay_alu instid0(VALU_DEP_2) | instskip(NEXT) | instid1(VALU_DEP_2)
	v_mul_lo_u32 v8, s2, v3
	v_mul_hi_u32 v9, s2, v2
	v_mul_lo_u32 v10, s26, v2
	s_delay_alu instid0(VALU_DEP_2) | instskip(SKIP_1) | instid1(VALU_DEP_2)
	v_add_nc_u32_e32 v8, v9, v8
	v_mul_lo_u32 v9, s2, v2
	v_add_nc_u32_e32 v8, v8, v10
	s_delay_alu instid0(VALU_DEP_2) | instskip(NEXT) | instid1(VALU_DEP_2)
	v_mul_hi_u32 v10, v2, v9
	v_mul_lo_u32 v11, v2, v8
	v_mul_hi_u32 v12, v2, v8
	v_mul_hi_u32 v13, v3, v9
	v_mul_lo_u32 v9, v3, v9
	v_mul_hi_u32 v14, v3, v8
	v_mul_lo_u32 v8, v3, v8
	v_add_co_u32 v10, vcc_lo, v10, v11
	v_add_co_ci_u32_e32 v11, vcc_lo, 0, v12, vcc_lo
	s_delay_alu instid0(VALU_DEP_2) | instskip(NEXT) | instid1(VALU_DEP_2)
	v_add_co_u32 v9, vcc_lo, v10, v9
	v_add_co_ci_u32_e32 v9, vcc_lo, v11, v13, vcc_lo
	v_add_co_ci_u32_e32 v10, vcc_lo, 0, v14, vcc_lo
	s_delay_alu instid0(VALU_DEP_2) | instskip(NEXT) | instid1(VALU_DEP_2)
	v_add_co_u32 v8, vcc_lo, v9, v8
	v_add_co_ci_u32_e32 v9, vcc_lo, 0, v10, vcc_lo
	s_delay_alu instid0(VALU_DEP_2) | instskip(NEXT) | instid1(VALU_DEP_2)
	v_add_co_u32 v2, vcc_lo, v2, v8
	v_add_co_ci_u32_e32 v3, vcc_lo, v3, v9, vcc_lo
	s_delay_alu instid0(VALU_DEP_2) | instskip(SKIP_1) | instid1(VALU_DEP_3)
	v_mul_hi_u32 v8, s2, v2
	v_mul_lo_u32 v10, s26, v2
	v_mul_lo_u32 v9, s2, v3
	s_delay_alu instid0(VALU_DEP_1) | instskip(SKIP_1) | instid1(VALU_DEP_2)
	v_add_nc_u32_e32 v8, v8, v9
	v_mul_lo_u32 v9, s2, v2
	v_add_nc_u32_e32 v8, v8, v10
	s_delay_alu instid0(VALU_DEP_2) | instskip(NEXT) | instid1(VALU_DEP_2)
	v_mul_hi_u32 v10, v2, v9
	v_mul_lo_u32 v11, v2, v8
	v_mul_hi_u32 v12, v2, v8
	v_mul_hi_u32 v13, v3, v9
	v_mul_lo_u32 v9, v3, v9
	v_mul_hi_u32 v14, v3, v8
	v_mul_lo_u32 v8, v3, v8
	v_add_co_u32 v10, vcc_lo, v10, v11
	v_add_co_ci_u32_e32 v11, vcc_lo, 0, v12, vcc_lo
	s_delay_alu instid0(VALU_DEP_2) | instskip(NEXT) | instid1(VALU_DEP_2)
	v_add_co_u32 v9, vcc_lo, v10, v9
	v_add_co_ci_u32_e32 v9, vcc_lo, v11, v13, vcc_lo
	v_add_co_ci_u32_e32 v10, vcc_lo, 0, v14, vcc_lo
	s_delay_alu instid0(VALU_DEP_2) | instskip(NEXT) | instid1(VALU_DEP_2)
	v_add_co_u32 v8, vcc_lo, v9, v8
	v_add_co_ci_u32_e32 v9, vcc_lo, 0, v10, vcc_lo
	s_delay_alu instid0(VALU_DEP_2) | instskip(NEXT) | instid1(VALU_DEP_2)
	v_add_co_u32 v10, vcc_lo, v2, v8
	v_add_co_ci_u32_e32 v12, vcc_lo, v3, v9, vcc_lo
	s_delay_alu instid0(VALU_DEP_2) | instskip(SKIP_1) | instid1(VALU_DEP_3)
	v_mul_hi_u32 v13, v6, v10
	v_mad_u64_u32 v[8:9], null, v7, v10, 0
	v_mad_u64_u32 v[2:3], null, v6, v12, 0
	;; [unrolled: 1-line block ×3, first 2 shown]
	s_delay_alu instid0(VALU_DEP_2) | instskip(NEXT) | instid1(VALU_DEP_3)
	v_add_co_u32 v2, vcc_lo, v13, v2
	v_add_co_ci_u32_e32 v3, vcc_lo, 0, v3, vcc_lo
	s_delay_alu instid0(VALU_DEP_2) | instskip(NEXT) | instid1(VALU_DEP_2)
	v_add_co_u32 v2, vcc_lo, v2, v8
	v_add_co_ci_u32_e32 v2, vcc_lo, v3, v9, vcc_lo
	v_add_co_ci_u32_e32 v3, vcc_lo, 0, v11, vcc_lo
	s_delay_alu instid0(VALU_DEP_2) | instskip(NEXT) | instid1(VALU_DEP_2)
	v_add_co_u32 v8, vcc_lo, v2, v10
	v_add_co_ci_u32_e32 v9, vcc_lo, 0, v3, vcc_lo
	s_delay_alu instid0(VALU_DEP_2) | instskip(SKIP_1) | instid1(VALU_DEP_3)
	v_mul_lo_u32 v10, s25, v8
	v_mad_u64_u32 v[2:3], null, s24, v8, 0
	v_mul_lo_u32 v11, s24, v9
	s_delay_alu instid0(VALU_DEP_2) | instskip(NEXT) | instid1(VALU_DEP_2)
	v_sub_co_u32 v2, vcc_lo, v6, v2
	v_add3_u32 v3, v3, v11, v10
	s_delay_alu instid0(VALU_DEP_1) | instskip(NEXT) | instid1(VALU_DEP_1)
	v_sub_nc_u32_e32 v10, v7, v3
	v_subrev_co_ci_u32_e64 v10, s2, s25, v10, vcc_lo
	v_add_co_u32 v11, s2, v8, 2
	s_delay_alu instid0(VALU_DEP_1) | instskip(SKIP_3) | instid1(VALU_DEP_3)
	v_add_co_ci_u32_e64 v12, s2, 0, v9, s2
	v_sub_co_u32 v13, s2, v2, s24
	v_sub_co_ci_u32_e32 v3, vcc_lo, v7, v3, vcc_lo
	v_subrev_co_ci_u32_e64 v10, s2, 0, v10, s2
	v_cmp_le_u32_e32 vcc_lo, s24, v13
	s_delay_alu instid0(VALU_DEP_3) | instskip(SKIP_1) | instid1(VALU_DEP_4)
	v_cmp_eq_u32_e64 s2, s25, v3
	v_cndmask_b32_e64 v13, 0, -1, vcc_lo
	v_cmp_le_u32_e32 vcc_lo, s25, v10
	v_cndmask_b32_e64 v14, 0, -1, vcc_lo
	v_cmp_le_u32_e32 vcc_lo, s24, v2
	;; [unrolled: 2-line block ×3, first 2 shown]
	v_cndmask_b32_e64 v15, 0, -1, vcc_lo
	v_cmp_eq_u32_e32 vcc_lo, s25, v10
	s_delay_alu instid0(VALU_DEP_2) | instskip(SKIP_3) | instid1(VALU_DEP_3)
	v_cndmask_b32_e64 v2, v15, v2, s2
	v_cndmask_b32_e32 v10, v14, v13, vcc_lo
	v_add_co_u32 v13, vcc_lo, v8, 1
	v_add_co_ci_u32_e32 v14, vcc_lo, 0, v9, vcc_lo
	v_cmp_ne_u32_e32 vcc_lo, 0, v10
	s_delay_alu instid0(VALU_DEP_2) | instskip(SKIP_1) | instid1(VALU_DEP_2)
	v_dual_cndmask_b32 v3, v14, v12 :: v_dual_cndmask_b32 v10, v13, v11
	v_cmp_ne_u32_e32 vcc_lo, 0, v2
	v_dual_cndmask_b32 v179, v9, v3 :: v_dual_cndmask_b32 v178, v8, v10
.LBB0_4:                                ;   in Loop: Header=BB0_2 Depth=1
	s_and_not1_saveexec_b32 s2, s3
	s_cbranch_execz .LBB0_6
; %bb.5:                                ;   in Loop: Header=BB0_2 Depth=1
	v_cvt_f32_u32_e32 v2, s24
	s_sub_i32 s3, 0, s24
	v_mov_b32_e32 v179, v1
	s_delay_alu instid0(VALU_DEP_2) | instskip(SKIP_2) | instid1(VALU_DEP_1)
	v_rcp_iflag_f32_e32 v2, v2
	s_waitcnt_depctr 0xfff
	v_mul_f32_e32 v2, 0x4f7ffffe, v2
	v_cvt_u32_f32_e32 v2, v2
	s_delay_alu instid0(VALU_DEP_1) | instskip(NEXT) | instid1(VALU_DEP_1)
	v_mul_lo_u32 v3, s3, v2
	v_mul_hi_u32 v3, v2, v3
	s_delay_alu instid0(VALU_DEP_1) | instskip(NEXT) | instid1(VALU_DEP_1)
	v_add_nc_u32_e32 v2, v2, v3
	v_mul_hi_u32 v2, v6, v2
	s_delay_alu instid0(VALU_DEP_1) | instskip(SKIP_1) | instid1(VALU_DEP_2)
	v_mul_lo_u32 v3, v2, s24
	v_add_nc_u32_e32 v8, 1, v2
	v_sub_nc_u32_e32 v3, v6, v3
	s_delay_alu instid0(VALU_DEP_1) | instskip(SKIP_1) | instid1(VALU_DEP_2)
	v_subrev_nc_u32_e32 v9, s24, v3
	v_cmp_le_u32_e32 vcc_lo, s24, v3
	v_dual_cndmask_b32 v3, v3, v9 :: v_dual_cndmask_b32 v2, v2, v8
	s_delay_alu instid0(VALU_DEP_1) | instskip(NEXT) | instid1(VALU_DEP_2)
	v_cmp_le_u32_e32 vcc_lo, s24, v3
	v_add_nc_u32_e32 v8, 1, v2
	s_delay_alu instid0(VALU_DEP_1)
	v_cndmask_b32_e32 v178, v2, v8, vcc_lo
.LBB0_6:                                ;   in Loop: Header=BB0_2 Depth=1
	s_or_b32 exec_lo, exec_lo, s2
	s_delay_alu instid0(VALU_DEP_1) | instskip(NEXT) | instid1(VALU_DEP_2)
	v_mul_lo_u32 v8, v179, s24
	v_mul_lo_u32 v9, v178, s25
	s_load_b64 s[2:3], s[14:15], 0x0
	v_mad_u64_u32 v[2:3], null, v178, s24, 0
	s_load_b64 s[24:25], s[12:13], 0x0
	s_add_u32 s22, s22, 1
	s_addc_u32 s23, s23, 0
	s_add_u32 s12, s12, 8
	s_addc_u32 s13, s13, 0
	s_add_u32 s14, s14, 8
	s_delay_alu instid0(VALU_DEP_1) | instskip(SKIP_3) | instid1(VALU_DEP_2)
	v_add3_u32 v3, v3, v9, v8
	v_sub_co_u32 v8, vcc_lo, v6, v2
	s_addc_u32 s15, s15, 0
	s_add_u32 s20, s20, 8
	v_sub_co_ci_u32_e32 v6, vcc_lo, v7, v3, vcc_lo
	s_addc_u32 s21, s21, 0
	s_waitcnt lgkmcnt(0)
	s_delay_alu instid0(VALU_DEP_1)
	v_mul_lo_u32 v9, s2, v6
	v_mul_lo_u32 v10, s3, v8
	v_mad_u64_u32 v[2:3], null, s2, v8, v[4:5]
	v_mul_lo_u32 v11, s24, v6
	v_mul_lo_u32 v12, s25, v8
	v_mad_u64_u32 v[6:7], null, s24, v8, v[176:177]
	v_cmp_ge_u64_e64 s2, s[22:23], s[6:7]
	v_add3_u32 v5, v10, v3, v9
	v_mov_b32_e32 v4, v2
	s_delay_alu instid0(VALU_DEP_4)
	v_add3_u32 v177, v12, v7, v11
	v_mov_b32_e32 v176, v6
	s_and_b32 vcc_lo, exec_lo, s2
	s_cbranch_vccnz .LBB0_9
; %bb.7:                                ;   in Loop: Header=BB0_2 Depth=1
	v_dual_mov_b32 v6, v178 :: v_dual_mov_b32 v7, v179
	s_branch .LBB0_2
.LBB0_8:
	v_dual_mov_b32 v177, v5 :: v_dual_mov_b32 v176, v4
	v_dual_mov_b32 v179, v7 :: v_dual_mov_b32 v178, v6
.LBB0_9:
	s_load_b64 s[0:1], s[0:1], 0x28
	v_mul_hi_u32 v1, 0x4104105, v0
	s_lshl_b64 s[6:7], s[6:7], 3
                                        ; implicit-def: $vgpr194
	s_delay_alu instid0(SALU_CYCLE_1) | instskip(SKIP_4) | instid1(VALU_DEP_1)
	s_add_u32 s2, s18, s6
	s_addc_u32 s3, s19, s7
	s_waitcnt lgkmcnt(0)
	v_cmp_gt_u64_e32 vcc_lo, s[0:1], v[178:179]
	v_cmp_le_u64_e64 s0, s[0:1], v[178:179]
	s_and_saveexec_b32 s1, s0
	s_delay_alu instid0(SALU_CYCLE_1)
	s_xor_b32 s0, exec_lo, s1
; %bb.10:
	v_mul_u32_u24_e32 v1, 63, v1
                                        ; implicit-def: $vgpr4_vgpr5
	s_delay_alu instid0(VALU_DEP_1)
	v_sub_nc_u32_e32 v194, v0, v1
                                        ; implicit-def: $vgpr1
                                        ; implicit-def: $vgpr0
; %bb.11:
	s_or_saveexec_b32 s1, s0
                                        ; implicit-def: $vgpr86_vgpr87
                                        ; implicit-def: $vgpr46_vgpr47
                                        ; implicit-def: $vgpr82_vgpr83
                                        ; implicit-def: $vgpr38_vgpr39
                                        ; implicit-def: $vgpr50_vgpr51
                                        ; implicit-def: $vgpr18_vgpr19
                                        ; implicit-def: $vgpr58_vgpr59
                                        ; implicit-def: $vgpr22_vgpr23
                                        ; implicit-def: $vgpr54_vgpr55
                                        ; implicit-def: $vgpr26_vgpr27
                                        ; implicit-def: $vgpr62_vgpr63
                                        ; implicit-def: $vgpr30_vgpr31
                                        ; implicit-def: $vgpr70_vgpr71
                                        ; implicit-def: $vgpr34_vgpr35
                                        ; implicit-def: $vgpr66_vgpr67
                                        ; implicit-def: $vgpr42_vgpr43
                                        ; implicit-def: $vgpr74_vgpr75
                                        ; implicit-def: $vgpr14_vgpr15
                                        ; implicit-def: $vgpr78_vgpr79
                                        ; implicit-def: $vgpr10_vgpr11
                                        ; implicit-def: $vgpr90_vgpr91
                                        ; implicit-def: $vgpr6_vgpr7
                                        ; implicit-def: $vgpr94_vgpr95
                                        ; implicit-def: $vgpr2_vgpr3
	s_delay_alu instid0(SALU_CYCLE_1)
	s_xor_b32 exec_lo, exec_lo, s1
	s_cbranch_execz .LBB0_13
; %bb.12:
	s_add_u32 s6, s16, s6
	s_addc_u32 s7, s17, s7
	s_load_b64 s[6:7], s[6:7], 0x0
	s_waitcnt lgkmcnt(0)
	v_mul_lo_u32 v6, s7, v178
	v_mul_lo_u32 v7, s6, v179
	v_mad_u64_u32 v[2:3], null, s6, v178, 0
	s_delay_alu instid0(VALU_DEP_1) | instskip(SKIP_1) | instid1(VALU_DEP_2)
	v_add3_u32 v3, v3, v7, v6
	v_mul_u32_u24_e32 v6, 63, v1
	v_lshlrev_b64 v[1:2], 4, v[2:3]
	v_lshlrev_b64 v[3:4], 4, v[4:5]
	s_delay_alu instid0(VALU_DEP_3) | instskip(NEXT) | instid1(VALU_DEP_3)
	v_sub_nc_u32_e32 v194, v0, v6
	v_add_co_u32 v0, s0, s8, v1
	s_delay_alu instid0(VALU_DEP_1) | instskip(NEXT) | instid1(VALU_DEP_3)
	v_add_co_ci_u32_e64 v1, s0, s9, v2, s0
	v_lshlrev_b32_e32 v2, 4, v194
	s_delay_alu instid0(VALU_DEP_3) | instskip(NEXT) | instid1(VALU_DEP_1)
	v_add_co_u32 v0, s0, v0, v3
	v_add_co_ci_u32_e64 v1, s0, v1, v4, s0
	s_delay_alu instid0(VALU_DEP_2) | instskip(NEXT) | instid1(VALU_DEP_1)
	v_add_co_u32 v16, s0, v0, v2
	v_add_co_ci_u32_e64 v17, s0, 0, v1, s0
	s_clause 0x1
	global_load_b128 v[0:3], v[16:17], off
	global_load_b128 v[4:7], v[16:17], off offset:1008
	v_add_co_u32 v44, s0, 0x2000, v16
	s_delay_alu instid0(VALU_DEP_1) | instskip(SKIP_1) | instid1(VALU_DEP_1)
	v_add_co_ci_u32_e64 v45, s0, 0, v17, s0
	v_add_co_u32 v18, s0, 0x3000, v16
	v_add_co_ci_u32_e64 v19, s0, 0, v17, s0
	v_add_co_u32 v20, s0, 0x1000, v16
	s_delay_alu instid0(VALU_DEP_1) | instskip(SKIP_1) | instid1(VALU_DEP_1)
	v_add_co_ci_u32_e64 v21, s0, 0, v17, s0
	v_add_co_u32 v36, s0, 0x4000, v16
	v_add_co_ci_u32_e64 v37, s0, 0, v17, s0
	v_add_co_u32 v84, s0, 0x5000, v16
	s_delay_alu instid0(VALU_DEP_1)
	v_add_co_ci_u32_e64 v85, s0, 0, v17, s0
	s_clause 0x15
	global_load_b128 v[8:11], v[16:17], off offset:2016
	global_load_b128 v[12:15], v[16:17], off offset:3024
	;; [unrolled: 1-line block ×22, first 2 shown]
.LBB0_13:
	s_or_b32 exec_lo, exec_lo, s1
	s_waitcnt vmcnt(19)
	v_add_f64 v[92:93], v[0:1], -v[92:93]
	s_waitcnt vmcnt(18)
	v_add_f64 v[96:97], v[4:5], -v[88:89]
	;; [unrolled: 2-line block ×5, first 2 shown]
	v_add_f64 v[112:113], v[32:33], -v[68:69]
	v_add_f64 v[116:117], v[28:29], -v[60:61]
	;; [unrolled: 1-line block ×3, first 2 shown]
	s_waitcnt vmcnt(5)
	v_add_f64 v[138:139], v[20:21], -v[56:57]
	s_waitcnt vmcnt(4)
	v_add_f64 v[142:143], v[16:17], -v[48:49]
	;; [unrolled: 2-line block ×4, first 2 shown]
	v_add_f64 v[60:61], v[2:3], -v[94:95]
	v_add_f64 v[64:65], v[6:7], -v[90:91]
	;; [unrolled: 1-line block ×12, first 2 shown]
	v_add_nc_u32_e32 v124, 63, v194
	v_add_nc_u32_e32 v132, 0x7e, v194
	;; [unrolled: 1-line block ×4, first 2 shown]
	v_lshl_add_u32 v131, v194, 4, 0
	v_add_nc_u32_e32 v123, 0x13b, v194
	v_add_nc_u32_e32 v121, 0x17a, v194
	;; [unrolled: 1-line block ×7, first 2 shown]
	v_lshl_add_u32 v54, v124, 4, 0
	v_lshl_add_u32 v55, v132, 4, 0
	v_fma_f64 v[90:91], v[0:1], 2.0, -v[92:93]
	v_fma_f64 v[94:95], v[4:5], 2.0, -v[96:97]
	;; [unrolled: 1-line block ×15, first 2 shown]
	v_lshl_add_u32 v158, v195, 4, 0
	v_fma_f64 v[70:71], v[14:15], 2.0, -v[72:73]
	v_lshl_add_u32 v159, v122, 4, 0
	v_fma_f64 v[74:75], v[42:43], 2.0, -v[76:77]
	s_load_b64 s[2:3], s[2:3], 0x0
	v_lshl_add_u32 v160, v123, 4, 0
	v_lshl_add_u32 v161, v121, 4, 0
	;; [unrolled: 1-line block ×7, first 2 shown]
	v_fma_f64 v[78:79], v[34:35], 2.0, -v[80:81]
	v_fma_f64 v[82:83], v[30:31], 2.0, -v[84:85]
	;; [unrolled: 1-line block ×5, first 2 shown]
	v_lshl_add_u32 v133, v194, 3, 0
	v_lshlrev_b32_e32 v57, 1, v57
	v_and_b32_e32 v184, 3, v195
	s_mov_b32 s6, 0xe8584caa
	s_mov_b32 s7, 0xbfebb67a
	v_add_nc_u32_e32 v134, 0x1400, v133
	ds_store_b128 v131, v[90:93]
	ds_store_b128 v54, v[94:97]
	;; [unrolled: 1-line block ×12, first 2 shown]
	v_fma_f64 v[127:128], v[22:23], 2.0, -v[129:130]
	v_fma_f64 v[150:151], v[38:39], 2.0, -v[152:153]
	v_add_nc_u32_e32 v135, 0x1800, v133
	v_add_nc_u32_e32 v141, 0x400, v133
	s_waitcnt lgkmcnt(0)
	s_barrier
	buffer_gl0_inv
	v_add_nc_u32_e32 v138, 0x1c00, v133
	v_add_nc_u32_e32 v137, 0x800, v133
	v_add_nc_u32_e32 v136, 0x2000, v133
	v_add_nc_u32_e32 v119, 0xc00, v133
	v_add_nc_u32_e32 v118, 0x2400, v133
	v_add_nc_u32_e32 v140, 0x1000, v133
	v_add_nc_u32_e32 v139, 0x2800, v133
	ds_load_2addr_b64 v[0:3], v133 offset1:63
	ds_load_2addr_b64 v[24:27], v134 offset0:116 offset1:179
	ds_load_2addr_b64 v[4:7], v133 offset0:126 offset1:189
	;; [unrolled: 1-line block ×11, first 2 shown]
	s_waitcnt lgkmcnt(0)
	s_barrier
	buffer_gl0_inv
	ds_store_b128 v131, v[58:61]
	ds_store_b128 v54, v[62:65]
	;; [unrolled: 1-line block ×8, first 2 shown]
	v_and_b32_e32 v54, 1, v194
	v_and_b32_e32 v71, 1, v195
	;; [unrolled: 1-line block ×6, first 2 shown]
	v_lshlrev_b32_e32 v55, 4, v71
	v_lshlrev_b32_e32 v58, 4, v72
	;; [unrolled: 1-line block ×4, first 2 shown]
	v_and_b32_e32 v117, 1, v124
	v_lshlrev_b32_e32 v116, 1, v194
	v_lshlrev_b32_e32 v66, 1, v132
	;; [unrolled: 1-line block ×3, first 2 shown]
	ds_store_b128 v163, v[127:130]
	ds_store_b128 v164, v[48:51]
	;; [unrolled: 1-line block ×4, first 2 shown]
	v_lshlrev_b32_e32 v48, 4, v54
	s_waitcnt lgkmcnt(0)
	s_barrier
	buffer_gl0_inv
	s_clause 0x1
	global_load_b128 v[79:82], v55, s[4:5]
	global_load_b128 v[48:51], v48, s[4:5]
	v_lshlrev_b32_e32 v55, 4, v73
	s_clause 0x4
	global_load_b128 v[75:78], v58, s[4:5]
	global_load_b128 v[83:86], v59, s[4:5]
	;; [unrolled: 1-line block ×4, first 2 shown]
	global_load_b64 v[129:130], v58, s[4:5] offset:8
	v_lshlrev_b32_e32 v55, 4, v117
	v_lshlrev_b32_e32 v59, 1, v53
	;; [unrolled: 1-line block ×3, first 2 shown]
	v_and_or_b32 v131, 0x7c, v116, v54
	v_lshlrev_b32_e32 v58, 1, v122
	global_load_b64 v[142:143], v55, s[4:5]
	ds_load_2addr_b64 v[95:98], v134 offset0:116 offset1:179
	ds_load_2addr_b64 v[99:102], v135 offset0:114 offset1:177
	;; [unrolled: 1-line block ×6, first 2 shown]
	v_lshlrev_b32_e32 v62, 1, v195
	v_lshlrev_b32_e32 v61, 1, v56
	;; [unrolled: 1-line block ×4, first 2 shown]
	v_and_b32_e32 v55, 3, v194
	v_lshlrev_b32_e32 v63, 1, v123
	v_and_b32_e32 v69, 3, v123
	v_and_b32_e32 v67, 3, v121
	v_and_or_b32 v117, 0xfc, v70, v117
	v_and_b32_e32 v68, 3, v120
	v_and_or_b32 v115, 0x2fc, v63, v115
	s_mov_b32 s9, 0x3febb67a
	s_mov_b32 s8, s6
	v_lshl_add_u32 v117, v117, 3, 0
	v_cmp_gt_u32_e64 s0, 9, v194
	v_lshl_add_u32 v115, v115, 3, 0
	s_waitcnt vmcnt(7) lgkmcnt(4)
	v_mul_f64 v[150:151], v[101:102], v[81:82]
	s_waitcnt vmcnt(6) lgkmcnt(1)
	v_mul_f64 v[160:161], v[111:112], v[50:51]
	s_waitcnt lgkmcnt(0)
	v_mul_f64 v[164:165], v[125:126], v[50:51]
	s_waitcnt vmcnt(3)
	v_mul_f64 v[158:159], v[109:110], v[89:90]
	s_waitcnt vmcnt(2)
	;; [unrolled: 2-line block ×3, first 2 shown]
	v_mul_f64 v[166:167], v[127:128], v[129:130]
	v_mul_f64 v[144:145], v[95:96], v[50:51]
	;; [unrolled: 1-line block ×19, first 2 shown]
	v_fma_f64 v[150:151], v[30:31], v[79:80], v[150:151]
	v_fma_f64 v[158:159], v[38:39], v[87:88], v[158:159]
	;; [unrolled: 1-line block ×7, first 2 shown]
	v_and_b32_e32 v24, 3, v53
	v_and_b32_e32 v25, 3, v52
	v_fma_f64 v[52:53], v[95:96], v[48:49], -v[168:169]
	s_waitcnt vmcnt(0)
	v_fma_f64 v[146:147], v[26:27], v[142:143], v[146:147]
	v_fma_f64 v[77:78], v[97:98], v[142:143], -v[77:78]
	v_fma_f64 v[148:149], v[28:29], v[48:49], v[148:149]
	v_fma_f64 v[95:96], v[99:100], v[48:49], -v[170:171]
	v_fma_f64 v[79:80], v[101:102], v[79:80], -v[81:82]
	v_fma_f64 v[152:153], v[32:33], v[48:49], v[152:153]
	v_fma_f64 v[81:82], v[103:104], v[48:49], -v[172:173]
	v_fma_f64 v[154:155], v[34:35], v[83:84], v[154:155]
	;; [unrolled: 2-line block ×3, first 2 shown]
	v_fma_f64 v[85:86], v[107:108], v[48:49], -v[174:175]
	v_fma_f64 v[87:88], v[109:110], v[87:88], -v[89:90]
	;; [unrolled: 1-line block ×6, first 2 shown]
	ds_load_2addr_b64 v[27:30], v133 offset1:63
	ds_load_2addr_b64 v[31:34], v133 offset0:126 offset1:189
	ds_load_2addr_b64 v[35:38], v141 offset0:124 offset1:187
	;; [unrolled: 1-line block ×3, first 2 shown]
	v_and_b32_e32 v26, 3, v56
	v_lshl_add_u32 v56, v131, 3, 0
	v_and_or_b32 v131, 0x1fc, v66, v54
	v_and_or_b32 v162, 0x3fc, v58, v54
	;; [unrolled: 1-line block ×6, first 2 shown]
	v_add_f64 v[103:104], v[6:7], -v[150:151]
	v_lshlrev_b32_e32 v160, 4, v55
	v_lshl_add_u32 v171, v143, 3, 0
	v_add_f64 v[111:112], v[14:15], -v[158:159]
	v_add_f64 v[113:114], v[16:17], -v[39:40]
	;; [unrolled: 1-line block ×3, first 2 shown]
	ds_load_2addr_b64 v[39:42], v137 offset0:122 offset1:185
	v_add_f64 v[127:128], v[20:21], -v[43:44]
	v_add_f64 v[129:130], v[22:23], -v[45:46]
	ds_load_2addr_b64 v[43:46], v119 offset0:120 offset1:183
	v_add_f64 v[97:98], v[0:1], -v[144:145]
	s_waitcnt lgkmcnt(5)
	v_add_f64 v[51:52], v[27:28], -v[52:53]
	v_add_f64 v[99:100], v[2:3], -v[146:147]
	v_and_or_b32 v145, 0x5fc, v60, v54
	v_add_f64 v[53:54], v[29:30], -v[77:78]
	v_add_f64 v[101:102], v[4:5], -v[148:149]
	v_and_or_b32 v146, 0x5fc, v61, v72
	s_waitcnt lgkmcnt(4)
	v_add_f64 v[71:72], v[31:32], -v[95:96]
	v_and_or_b32 v144, 0x4fc, v59, v73
	v_add_f64 v[73:74], v[33:34], -v[79:80]
	v_add_f64 v[105:106], v[8:9], -v[152:153]
	s_waitcnt lgkmcnt(3)
	v_add_f64 v[77:78], v[35:36], -v[81:82]
	v_add_f64 v[107:108], v[10:11], -v[154:155]
	v_add_f64 v[79:80], v[37:38], -v[83:84]
	v_add_f64 v[109:110], v[12:13], -v[156:157]
	v_lshl_add_u32 v170, v142, 3, 0
	s_waitcnt lgkmcnt(1)
	v_add_f64 v[81:82], v[39:40], -v[85:86]
	v_add_f64 v[83:84], v[41:42], -v[87:88]
	;; [unrolled: 1-line block ×3, first 2 shown]
	s_waitcnt lgkmcnt(0)
	v_add_f64 v[85:86], v[43:44], -v[89:90]
	v_add_f64 v[87:88], v[45:46], -v[91:92]
	;; [unrolled: 1-line block ×3, first 2 shown]
	v_lshl_add_u32 v172, v144, 3, 0
	v_lshl_add_u32 v173, v145, 3, 0
	;; [unrolled: 1-line block ×3, first 2 shown]
	v_lshlrev_b32_e32 v167, 4, v24
	v_lshlrev_b32_e32 v168, 4, v25
	v_lshl_add_u32 v131, v131, 3, 0
	v_fma_f64 v[6:7], v[6:7], 2.0, -v[103:104]
	v_lshlrev_b32_e32 v169, 4, v26
	v_lshl_add_u32 v161, v161, 3, 0
	v_fma_f64 v[14:15], v[14:15], 2.0, -v[111:112]
	v_fma_f64 v[16:17], v[16:17], 2.0, -v[113:114]
	;; [unrolled: 1-line block ×3, first 2 shown]
	v_lshlrev_b32_e32 v166, 4, v69
	v_fma_f64 v[20:21], v[20:21], 2.0, -v[127:128]
	v_fma_f64 v[22:23], v[22:23], 2.0, -v[129:130]
	v_lshl_add_u32 v162, v162, 3, 0
	v_fma_f64 v[0:1], v[0:1], 2.0, -v[97:98]
	v_fma_f64 v[91:92], v[27:28], 2.0, -v[51:52]
	;; [unrolled: 1-line block ×3, first 2 shown]
	v_lshlrev_b32_e32 v164, 4, v67
	v_fma_f64 v[93:94], v[29:30], 2.0, -v[53:54]
	v_fma_f64 v[4:5], v[4:5], 2.0, -v[101:102]
	v_lshlrev_b32_e32 v165, 4, v68
	v_fma_f64 v[95:96], v[31:32], 2.0, -v[71:72]
	v_lshl_add_u32 v163, v163, 3, 0
	v_fma_f64 v[142:143], v[33:34], 2.0, -v[73:74]
	v_fma_f64 v[8:9], v[8:9], 2.0, -v[105:106]
	;; [unrolled: 1-line block ×12, first 2 shown]
	s_barrier
	buffer_gl0_inv
	ds_store_2addr_b64 v56, v[0:1], v[97:98] offset1:2
	ds_store_2addr_b64 v117, v[2:3], v[99:100] offset1:2
	;; [unrolled: 1-line block ×12, first 2 shown]
	s_waitcnt lgkmcnt(0)
	s_barrier
	buffer_gl0_inv
	ds_load_2addr_b64 v[0:3], v133 offset1:63
	ds_load_2addr_b64 v[4:7], v134 offset0:116 offset1:179
	ds_load_2addr_b64 v[8:11], v133 offset0:126 offset1:189
	;; [unrolled: 1-line block ×11, first 2 shown]
	s_waitcnt lgkmcnt(0)
	s_barrier
	buffer_gl0_inv
	ds_store_2addr_b64 v56, v[91:92], v[51:52] offset1:2
	ds_store_2addr_b64 v117, v[93:94], v[53:54] offset1:2
	;; [unrolled: 1-line block ×12, first 2 shown]
	s_waitcnt lgkmcnt(0)
	s_barrier
	buffer_gl0_inv
	s_clause 0x9
	global_load_b128 v[51:54], v160, s[4:5] offset:32
	global_load_b128 v[71:74], v167, s[4:5] offset:32
	;; [unrolled: 1-line block ×7, first 2 shown]
	global_load_b64 v[130:131], v167, s[4:5] offset:40
	global_load_b64 v[142:143], v168, s[4:5] offset:40
	;; [unrolled: 1-line block ×3, first 2 shown]
	v_and_b32_e32 v56, 3, v124
	v_and_b32_e32 v115, 3, v132
	v_lshlrev_b32_e32 v97, 4, v184
	v_and_b32_e32 v117, 7, v194
	v_and_b32_e32 v125, 7, v124
	v_lshlrev_b32_e32 v95, 4, v56
	v_lshlrev_b32_e32 v96, 4, v115
	s_clause 0x2
	global_load_b64 v[146:147], v95, s[4:5] offset:32
	global_load_b64 v[148:149], v96, s[4:5] offset:32
	;; [unrolled: 1-line block ×3, first 2 shown]
	ds_load_2addr_b64 v[95:98], v134 offset0:116 offset1:179
	ds_load_2addr_b64 v[99:102], v135 offset0:114 offset1:177
	;; [unrolled: 1-line block ×6, first 2 shown]
	v_and_or_b32 v115, 0x1f8, v66, v115
	s_waitcnt vmcnt(12) lgkmcnt(1)
	v_mul_f64 v[168:169], v[111:112], v[53:54]
	v_mul_f64 v[152:153], v[95:96], v[53:54]
	;; [unrolled: 1-line block ×3, first 2 shown]
	s_waitcnt vmcnt(11)
	v_mul_f64 v[154:155], v[97:98], v[73:74]
	v_mul_f64 v[73:74], v[6:7], v[73:74]
	s_waitcnt vmcnt(7)
	v_mul_f64 v[164:165], v[107:108], v[89:90]
	s_waitcnt vmcnt(6)
	;; [unrolled: 2-line block ×3, first 2 shown]
	v_mul_f64 v[170:171], v[113:114], v[130:131]
	s_waitcnt vmcnt(4) lgkmcnt(0)
	v_mul_f64 v[172:173], v[126:127], v[142:143]
	s_waitcnt vmcnt(3)
	v_mul_f64 v[174:175], v[128:129], v[144:145]
	v_mul_f64 v[156:157], v[99:100], v[77:78]
	;; [unrolled: 1-line block ×15, first 2 shown]
	v_fma_f64 v[39:40], v[39:40], v[51:52], v[168:169]
	v_fma_f64 v[152:153], v[4:5], v[51:52], v[152:153]
	v_fma_f64 v[95:96], v[95:96], v[51:52], -v[180:181]
	s_waitcnt vmcnt(2)
	v_fma_f64 v[154:155], v[6:7], v[146:147], v[154:155]
	v_fma_f64 v[73:74], v[97:98], v[146:147], -v[73:74]
	v_fma_f64 v[31:32], v[31:32], v[87:88], v[164:165]
	v_fma_f64 v[33:34], v[33:34], v[91:92], v[166:167]
	;; [unrolled: 1-line block ×5, first 2 shown]
	s_waitcnt vmcnt(1)
	v_fma_f64 v[156:157], v[12:13], v[148:149], v[156:157]
	v_fma_f64 v[77:78], v[99:100], v[148:149], -v[77:78]
	s_waitcnt vmcnt(0)
	v_fma_f64 v[158:159], v[14:15], v[150:151], v[158:159]
	v_fma_f64 v[81:82], v[101:102], v[150:151], -v[81:82]
	v_fma_f64 v[160:161], v[20:21], v[51:52], v[160:161]
	v_fma_f64 v[97:98], v[103:104], v[51:52], -v[182:183]
	;; [unrolled: 2-line block ×3, first 2 shown]
	v_fma_f64 v[85:86], v[107:108], v[87:88], -v[89:90]
	v_fma_f64 v[87:88], v[109:110], v[91:92], -v[93:94]
	;; [unrolled: 1-line block ×4, first 2 shown]
	v_and_or_b32 v166, 0xf8, v70, v56
	v_fma_f64 v[70:71], v[126:127], v[75:76], -v[142:143]
	v_fma_f64 v[75:76], v[128:129], v[79:80], -v[144:145]
	v_and_or_b32 v4, 0x78, v116, v55
	v_and_or_b32 v130, 0x3f8, v58, v55
	;; [unrolled: 1-line block ×5, first 2 shown]
	v_lshl_add_u32 v165, v4, 3, 0
	ds_load_2addr_b64 v[4:7], v133 offset1:63
	ds_load_2addr_b64 v[12:15], v133 offset0:126 offset1:189
	ds_load_2addr_b64 v[20:23], v141 offset0:124 offset1:187
	v_and_or_b32 v126, 0x1f8, v62, v184
	v_and_or_b32 v144, 0x5f8, v61, v26
	;; [unrolled: 1-line block ×5, first 2 shown]
	v_lshl_add_u32 v146, v130, 3, 0
	v_add_f64 v[107:108], v[35:36], -v[39:40]
	v_add_f64 v[79:80], v[0:1], -v[152:153]
	v_lshl_add_u32 v147, v127, 3, 0
	v_add_f64 v[89:90], v[2:3], -v[154:155]
	v_lshl_add_u32 v148, v128, 3, 0
	v_add_f64 v[103:104], v[27:28], -v[31:32]
	v_add_f64 v[105:106], v[29:30], -v[33:34]
	ds_load_2addr_b64 v[31:34], v137 offset0:122 offset1:185
	v_add_f64 v[109:110], v[37:38], -v[41:42]
	ds_load_2addr_b64 v[39:42], v119 offset0:120 offset1:183
	v_add_f64 v[111:112], v[43:44], -v[47:48]
	v_add_f64 v[113:114], v[45:46], -v[49:50]
	ds_load_2addr_b64 v[47:50], v140 offset0:118 offset1:181
	s_waitcnt lgkmcnt(5)
	v_add_f64 v[55:56], v[4:5], -v[95:96]
	v_add_f64 v[57:58], v[6:7], -v[73:74]
	;; [unrolled: 1-line block ×3, first 2 shown]
	s_waitcnt lgkmcnt(4)
	v_add_f64 v[59:60], v[12:13], -v[77:78]
	v_add_f64 v[93:94], v[10:11], -v[158:159]
	;; [unrolled: 1-line block ×4, first 2 shown]
	s_waitcnt lgkmcnt(3)
	v_add_f64 v[63:64], v[20:21], -v[97:98]
	v_add_f64 v[101:102], v[18:19], -v[162:163]
	;; [unrolled: 1-line block ×3, first 2 shown]
	v_lshl_add_u32 v78, v115, 3, 0
	v_lshl_add_u32 v115, v126, 3, 0
	;; [unrolled: 1-line block ×4, first 2 shown]
	s_waitcnt lgkmcnt(2)
	v_add_f64 v[67:68], v[31:32], -v[85:86]
	v_add_f64 v[72:73], v[33:34], -v[87:88]
	s_waitcnt lgkmcnt(1)
	v_add_f64 v[51:52], v[39:40], -v[51:52]
	v_add_f64 v[53:54], v[41:42], -v[53:54]
	v_lshl_add_u32 v151, v142, 3, 0
	s_waitcnt lgkmcnt(0)
	v_add_f64 v[69:70], v[47:48], -v[70:71]
	v_add_f64 v[74:75], v[49:50], -v[75:76]
	v_lshl_add_u32 v152, v143, 3, 0
	v_lshlrev_b32_e32 v164, 5, v117
	v_lshlrev_b32_e32 v145, 5, v125
	v_lshl_add_u32 v71, v166, 3, 0
	v_lshl_add_u32 v144, v144, 3, 0
	v_fma_f64 v[0:1], v[0:1], 2.0, -v[79:80]
	v_fma_f64 v[2:3], v[2:3], 2.0, -v[89:90]
	s_barrier
	v_fma_f64 v[24:25], v[27:28], 2.0, -v[103:104]
	v_fma_f64 v[26:27], v[29:30], 2.0, -v[105:106]
	;; [unrolled: 1-line block ×4, first 2 shown]
	buffer_gl0_inv
	v_fma_f64 v[37:38], v[43:44], 2.0, -v[111:112]
	v_fma_f64 v[43:44], v[45:46], 2.0, -v[113:114]
	v_lshrrev_b32_e32 v160, 3, v124
	v_fma_f64 v[76:77], v[4:5], 2.0, -v[55:56]
	v_fma_f64 v[81:82], v[6:7], 2.0, -v[57:58]
	;; [unrolled: 1-line block ×10, first 2 shown]
	ds_store_2addr_b64 v165, v[0:1], v[79:80] offset1:4
	ds_store_2addr_b64 v71, v[2:3], v[89:90] offset1:4
	ds_store_2addr_b64 v78, v[8:9], v[91:92] offset1:4
	ds_store_2addr_b64 v115, v[10:11], v[93:94] offset1:4
	ds_store_2addr_b64 v146, v[16:17], v[99:100] offset1:4
	ds_store_2addr_b64 v147, v[18:19], v[101:102] offset1:4
	ds_store_2addr_b64 v148, v[24:25], v[103:104] offset1:4
	ds_store_2addr_b64 v149, v[26:27], v[105:106] offset1:4
	ds_store_2addr_b64 v150, v[28:29], v[107:108] offset1:4
	ds_store_2addr_b64 v151, v[35:36], v[109:110] offset1:4
	ds_store_2addr_b64 v152, v[37:38], v[111:112] offset1:4
	ds_store_2addr_b64 v144, v[43:44], v[113:114] offset1:4
	v_fma_f64 v[97:98], v[31:32], 2.0, -v[67:68]
	v_fma_f64 v[126:127], v[33:34], 2.0, -v[72:73]
	;; [unrolled: 1-line block ×6, first 2 shown]
	s_waitcnt lgkmcnt(0)
	s_barrier
	buffer_gl0_inv
	ds_load_2addr_b64 v[12:15], v133 offset1:63
	ds_load_2addr_b64 v[44:47], v119 offset0:120 offset1:183
	ds_load_2addr_b64 v[40:43], v138 offset0:112 offset1:175
	;; [unrolled: 1-line block ×11, first 2 shown]
	s_waitcnt lgkmcnt(0)
	s_barrier
	buffer_gl0_inv
	ds_store_2addr_b64 v165, v[76:77], v[55:56] offset1:4
	ds_store_2addr_b64 v71, v[81:82], v[57:58] offset1:4
	;; [unrolled: 1-line block ×12, first 2 shown]
	s_waitcnt lgkmcnt(0)
	s_barrier
	buffer_gl0_inv
	s_clause 0x1
	global_load_b128 v[48:51], v164, s[4:5] offset:96
	global_load_b128 v[52:55], v145, s[4:5] offset:96
	v_and_b32_e32 v142, 7, v132
	v_and_b32_e32 v143, 7, v195
	s_clause 0x1
	global_load_b128 v[56:59], v164, s[4:5] offset:112
	global_load_b128 v[60:63], v145, s[4:5] offset:112
	v_and_b32_e32 v144, 7, v122
	v_and_b32_e32 v145, 7, v123
	v_lshlrev_b32_e32 v68, 5, v142
	v_lshlrev_b32_e32 v69, 5, v143
	s_clause 0x1
	global_load_b128 v[72:75], v68, s[4:5] offset:96
	global_load_b128 v[64:67], v69, s[4:5] offset:96
	v_lshlrev_b32_e32 v88, 5, v144
	v_lshlrev_b32_e32 v89, 5, v145
	s_clause 0x3
	global_load_b128 v[80:83], v68, s[4:5] offset:112
	global_load_b128 v[76:79], v69, s[4:5] offset:112
	;; [unrolled: 1-line block ×4, first 2 shown]
	v_and_b32_e32 v146, 7, v121
	v_and_b32_e32 v147, 7, v120
	global_load_b128 v[96:99], v88, s[4:5] offset:112
	v_mul_u32_u24_e32 v172, 24, v160
	v_lshrrev_b32_e32 v126, 3, v194
	v_lshlrev_b32_e32 v100, 5, v146
	v_lshlrev_b32_e32 v108, 5, v147
	s_clause 0x4
	global_load_b128 v[88:91], v89, s[4:5] offset:112
	global_load_b128 v[92:95], v100, s[4:5] offset:96
	;; [unrolled: 1-line block ×5, first 2 shown]
	ds_load_2addr_b64 v[112:115], v119 offset0:120 offset1:183
	ds_load_2addr_b64 v[148:151], v138 offset0:112 offset1:175
	;; [unrolled: 1-line block ×3, first 2 shown]
	v_and_b32_e32 v127, 0xff, v194
	v_mul_u32_u24_e32 v126, 24, v126
	v_lshrrev_b32_e32 v164, 3, v132
	v_lshrrev_b32_e32 v165, 3, v195
	;; [unrolled: 1-line block ×6, first 2 shown]
	v_mul_lo_u16 v170, 0xab, v127
	v_and_b32_e32 v171, 0xff, v124
	ds_load_2addr_b64 v[152:155], v140 offset0:118 offset1:181
	v_or_b32_e32 v117, v126, v117
	ds_load_2addr_b64 v[156:159], v136 offset0:110 offset1:173
	v_mul_u32_u24_e32 v202, 24, v164
	v_mul_u32_u24_e32 v203, 24, v165
	;; [unrolled: 1-line block ×6, first 2 shown]
	v_lshrrev_b16 v126, 12, v170
	v_mul_lo_u16 v208, 0xab, v171
	ds_load_2addr_b64 v[164:167], v118 offset0:108 offset1:171
	ds_load_2addr_b64 v[168:171], v135 offset0:114 offset1:177
	v_or_b32_e32 v125, v172, v125
	ds_load_2addr_b64 v[172:175], v139 offset0:106 offset1:169
	v_or_b32_e32 v202, v202, v142
	v_or_b32_e32 v203, v203, v143
	v_or_b32_e32 v204, v204, v144
	v_or_b32_e32 v205, v205, v145
	v_or_b32_e32 v146, v206, v146
	v_and_b32_e32 v127, 0xff, v132
	v_lshl_add_u32 v117, v117, 3, 0
	v_and_b32_e32 v128, 0xff, v195
	v_and_b32_e32 v130, 0xffff, v122
	v_lshl_add_u32 v125, v125, 3, 0
	v_and_b32_e32 v131, 0xffff, v123
	v_mul_lo_u16 v209, 0xab, v127
	v_mul_lo_u16 v210, 0xab, v128
	v_and_b32_e32 v129, 0xffff, v121
	s_waitcnt vmcnt(15) lgkmcnt(7)
	v_mul_f64 v[180:181], v[112:113], v[50:51]
	v_mul_f64 v[50:51], v[44:45], v[50:51]
	s_waitcnt vmcnt(14)
	v_mul_f64 v[182:183], v[114:115], v[54:55]
	v_mul_f64 v[54:55], v[46:47], v[54:55]
	s_waitcnt vmcnt(13) lgkmcnt(6)
	v_mul_f64 v[184:185], v[148:149], v[58:59]
	v_mul_f64 v[58:59], v[40:41], v[58:59]
	s_waitcnt vmcnt(12)
	v_mul_f64 v[186:187], v[150:151], v[62:63]
	v_mul_f64 v[62:63], v[42:43], v[62:63]
	s_waitcnt vmcnt(11) lgkmcnt(4)
	v_mul_f64 v[188:189], v[152:153], v[74:75]
	s_waitcnt vmcnt(10)
	v_mul_f64 v[190:191], v[154:155], v[66:67]
	s_waitcnt vmcnt(9) lgkmcnt(3)
	v_mul_f64 v[192:193], v[156:157], v[82:83]
	s_waitcnt vmcnt(8)
	v_mul_f64 v[196:197], v[158:159], v[78:79]
	s_waitcnt vmcnt(7)
	;; [unrolled: 2-line block ×3, first 2 shown]
	v_mul_f64 v[200:201], v[162:163], v[86:87]
	v_mul_f64 v[66:67], v[38:39], v[66:67]
	v_mul_f64 v[78:79], v[34:35], v[78:79]
	v_mul_f64 v[70:71], v[28:29], v[70:71]
	s_waitcnt vmcnt(3) lgkmcnt(1)
	v_mul_f64 v[142:143], v[168:169], v[94:95]
	v_mul_f64 v[94:95], v[16:17], v[94:95]
	s_waitcnt vmcnt(1)
	v_mul_f64 v[144:145], v[170:171], v[106:107]
	v_fma_f64 v[44:45], v[44:45], v[48:49], v[180:181]
	v_fma_f64 v[48:49], v[112:113], v[48:49], -v[50:51]
	v_mul_f64 v[50:51], v[36:37], v[74:75]
	v_mul_f64 v[74:75], v[164:165], v[98:99]
	v_fma_f64 v[46:47], v[46:47], v[52:53], v[182:183]
	v_mul_f64 v[112:113], v[166:167], v[90:91]
	v_fma_f64 v[52:53], v[114:115], v[52:53], -v[54:55]
	s_waitcnt lgkmcnt(0)
	v_mul_f64 v[54:55], v[172:173], v[102:103]
	s_waitcnt vmcnt(0)
	v_mul_f64 v[180:181], v[174:175], v[110:111]
	v_fma_f64 v[40:41], v[40:41], v[56:57], v[184:185]
	v_fma_f64 v[56:57], v[148:149], v[56:57], -v[58:59]
	v_mul_f64 v[58:59], v[32:33], v[82:83]
	v_mul_f64 v[82:83], v[30:31], v[86:87]
	;; [unrolled: 1-line block ×5, first 2 shown]
	v_fma_f64 v[106:107], v[28:29], v[68:69], v[198:199]
	v_mul_f64 v[28:29], v[20:21], v[102:103]
	v_fma_f64 v[148:149], v[30:31], v[84:85], v[200:201]
	v_mul_f64 v[30:31], v[22:23], v[110:111]
	v_lshrrev_b16 v114, 12, v208
	v_mul_lo_u16 v102, v126, 24
	v_fma_f64 v[42:43], v[42:43], v[60:61], v[186:187]
	v_fma_f64 v[34:35], v[34:35], v[76:77], v[196:197]
	v_lshl_add_u32 v196, v146, 3, 0
	v_mul_lo_u16 v103, v114, 24
	v_sub_nc_u16 v146, v194, v102
	v_fma_f64 v[110:111], v[16:17], v[92:93], v[142:143]
	v_fma_f64 v[142:143], v[18:19], v[104:105], v[144:145]
	v_fma_f64 v[60:61], v[150:151], v[60:61], -v[62:63]
	v_fma_f64 v[36:37], v[36:37], v[72:73], v[188:189]
	v_fma_f64 v[32:33], v[32:33], v[80:81], v[192:193]
	;; [unrolled: 1-line block ×3, first 2 shown]
	v_fma_f64 v[62:63], v[154:155], v[64:65], -v[66:67]
	v_fma_f64 v[64:65], v[158:159], v[76:77], -v[78:79]
	;; [unrolled: 1-line block ×4, first 2 shown]
	v_or_b32_e32 v115, v207, v147
	ds_load_2addr_b64 v[16:19], v133 offset1:63
	v_lshl_add_u32 v190, v202, 3, 0
	v_fma_f64 v[50:51], v[152:153], v[72:73], -v[50:51]
	v_fma_f64 v[74:75], v[24:25], v[96:97], v[74:75]
	v_sub_nc_u16 v24, v124, v103
	v_fma_f64 v[102:103], v[26:27], v[88:89], v[112:113]
	v_and_b32_e32 v112, 0xff, v146
	v_fma_f64 v[54:55], v[20:21], v[100:101], v[54:55]
	v_fma_f64 v[144:145], v[22:23], v[108:109], v[180:181]
	v_and_b32_e32 v113, 0xff, v24
	ds_load_2addr_b64 v[20:23], v133 offset0:126 offset1:189
	v_fma_f64 v[58:59], v[156:157], v[80:81], -v[58:59]
	v_fma_f64 v[70:71], v[162:163], v[84:85], -v[82:83]
	;; [unrolled: 1-line block ×5, first 2 shown]
	v_add_f64 v[84:85], v[44:45], v[40:41]
	v_fma_f64 v[80:81], v[172:173], v[100:101], -v[28:29]
	v_add_f64 v[104:105], v[48:49], v[56:57]
	v_fma_f64 v[82:83], v[174:175], v[108:109], -v[30:31]
	ds_load_2addr_b64 v[24:27], v141 offset0:124 offset1:187
	ds_load_2addr_b64 v[28:31], v137 offset0:122 offset1:185
	v_add_f64 v[90:91], v[12:13], v[44:45]
	v_add_f64 v[86:87], v[46:47], v[42:43]
	v_add_f64 v[94:95], v[48:49], -v[56:57]
	s_waitcnt lgkmcnt(3)
	v_add_f64 v[48:49], v[16:17], v[48:49]
	v_add_f64 v[152:153], v[18:19], v[52:53]
	v_add_f64 v[44:45], v[44:45], -v[40:41]
	v_add_f64 v[98:99], v[14:15], v[46:47]
	v_add_f64 v[170:171], v[6:7], v[148:149]
	;; [unrolled: 1-line block ×6, first 2 shown]
	s_waitcnt lgkmcnt(2)
	v_add_f64 v[164:165], v[22:23], v[62:63]
	v_add_f64 v[162:163], v[62:63], v[64:65]
	;; [unrolled: 1-line block ×3, first 2 shown]
	v_add_f64 v[52:53], v[52:53], -v[60:61]
	v_add_f64 v[46:47], v[46:47], -v[42:43]
	v_add_f64 v[154:155], v[8:9], v[36:37]
	v_add_f64 v[36:37], v[36:37], -v[32:33]
	v_add_f64 v[158:159], v[10:11], v[38:39]
	v_add_f64 v[96:97], v[106:107], v[74:75]
	v_add_f64 v[62:63], v[62:63], -v[64:65]
	v_add_f64 v[100:101], v[148:149], v[102:103]
	v_add_f64 v[38:39], v[38:39], -v[34:35]
	v_add_f64 v[108:109], v[110:111], v[54:55]
	v_add_f64 v[146:147], v[142:143], v[144:145]
	;; [unrolled: 1-line block ×3, first 2 shown]
	v_lshlrev_b32_e32 v197, 5, v112
	v_add_f64 v[160:161], v[50:51], v[58:59]
	v_add_f64 v[156:157], v[50:51], -v[58:59]
	v_add_f64 v[172:173], v[66:67], v[68:69]
	v_add_f64 v[174:175], v[70:71], v[72:73]
	;; [unrolled: 1-line block ×3, first 2 shown]
	v_add_f64 v[168:169], v[66:67], -v[68:69]
	v_add_f64 v[182:183], v[76:77], v[80:81]
	s_waitcnt lgkmcnt(1)
	v_add_f64 v[66:67], v[24:25], v[66:67]
	v_add_f64 v[184:185], v[78:79], v[82:83]
	v_fma_f64 v[12:13], v[84:85], -0.5, v[12:13]
	v_add_f64 v[84:85], v[76:77], -v[80:81]
	s_waitcnt lgkmcnt(0)
	v_add_f64 v[76:77], v[28:29], v[76:77]
	v_fma_f64 v[16:17], v[104:105], -0.5, v[16:17]
	v_add_f64 v[188:189], v[26:27], v[70:71]
	v_add_f64 v[70:71], v[70:71], -v[72:73]
	v_fma_f64 v[14:15], v[86:87], -0.5, v[14:15]
	v_add_f64 v[86:87], v[30:31], v[78:79]
	v_add_f64 v[78:79], v[78:79], -v[82:83]
	v_fma_f64 v[18:19], v[150:151], -0.5, v[18:19]
	v_add_f64 v[40:41], v[90:91], v[40:41]
	v_fma_f64 v[8:9], v[88:89], -0.5, v[8:9]
	v_fma_f64 v[10:11], v[92:93], -0.5, v[10:11]
	v_add_f64 v[88:89], v[106:107], -v[74:75]
	v_fma_f64 v[22:23], v[162:163], -0.5, v[22:23]
	v_add_f64 v[92:93], v[148:149], -v[102:103]
	v_add_f64 v[48:49], v[48:49], v[56:57]
	v_add_f64 v[56:57], v[152:153], v[60:61]
	;; [unrolled: 1-line block ×5, first 2 shown]
	v_fma_f64 v[4:5], v[96:97], -0.5, v[4:5]
	v_add_f64 v[96:97], v[110:111], -v[54:55]
	v_fma_f64 v[6:7], v[100:101], -0.5, v[6:7]
	v_add_f64 v[100:101], v[142:143], -v[144:145]
	v_fma_f64 v[0:1], v[108:109], -0.5, v[0:1]
	v_fma_f64 v[2:3], v[146:147], -0.5, v[2:3]
	v_add_f64 v[90:91], v[170:171], v[102:103]
	v_add_f64 v[74:75], v[166:167], v[74:75]
	v_fma_f64 v[20:21], v[160:161], -0.5, v[20:21]
	v_add_f64 v[98:99], v[186:187], v[144:145]
	v_fma_f64 v[24:25], v[172:173], -0.5, v[24:25]
	v_fma_f64 v[26:27], v[174:175], -0.5, v[26:27]
	v_add_f64 v[50:51], v[50:51], v[58:59]
	v_add_f64 v[58:59], v[164:165], v[64:65]
	v_fma_f64 v[28:29], v[182:183], -0.5, v[28:29]
	v_add_f64 v[64:65], v[66:67], v[68:69]
	v_fma_f64 v[30:31], v[184:185], -0.5, v[30:31]
	v_fma_f64 v[60:61], v[94:95], s[6:7], v[12:13]
	v_fma_f64 v[12:13], v[94:95], s[8:9], v[12:13]
	v_add_f64 v[68:69], v[76:77], v[80:81]
	v_fma_f64 v[76:77], v[44:45], s[8:9], v[16:17]
	v_add_f64 v[66:67], v[188:189], v[72:73]
	v_add_f64 v[54:55], v[180:181], v[54:55]
	v_fma_f64 v[94:95], v[52:53], s[6:7], v[14:15]
	v_fma_f64 v[14:15], v[52:53], s[8:9], v[14:15]
	v_add_f64 v[72:73], v[86:87], v[82:83]
	v_fma_f64 v[80:81], v[46:47], s[8:9], v[18:19]
	v_fma_f64 v[82:83], v[46:47], s[6:7], v[18:19]
	;; [unrolled: 1-line block ×8, first 2 shown]
	v_lshl_add_u32 v191, v203, 3, 0
	v_lshl_add_u32 v192, v204, 3, 0
	;; [unrolled: 1-line block ×4, first 2 shown]
	v_fma_f64 v[62:63], v[168:169], s[6:7], v[4:5]
	v_fma_f64 v[4:5], v[168:169], s[8:9], v[4:5]
	v_fma_f64 v[104:105], v[70:71], s[6:7], v[6:7]
	v_fma_f64 v[6:7], v[70:71], s[8:9], v[6:7]
	v_fma_f64 v[70:71], v[84:85], s[6:7], v[0:1]
	v_fma_f64 v[0:1], v[84:85], s[8:9], v[0:1]
	v_fma_f64 v[84:85], v[78:79], s[6:7], v[2:3]
	v_fma_f64 v[2:3], v[78:79], s[8:9], v[2:3]
	v_fma_f64 v[78:79], v[44:45], s[6:7], v[16:17]
	v_fma_f64 v[86:87], v[36:37], s[8:9], v[20:21]
	v_fma_f64 v[106:107], v[36:37], s[6:7], v[20:21]
	v_fma_f64 v[142:143], v[88:89], s[8:9], v[24:25]
	v_fma_f64 v[88:89], v[88:89], s[6:7], v[24:25]
	v_fma_f64 v[144:145], v[92:93], s[8:9], v[26:27]
	v_fma_f64 v[92:93], v[92:93], s[6:7], v[26:27]
	v_fma_f64 v[146:147], v[96:97], s[8:9], v[28:29]
	v_fma_f64 v[96:97], v[96:97], s[6:7], v[28:29]
	v_fma_f64 v[148:149], v[100:101], s[8:9], v[30:31]
	v_fma_f64 v[100:101], v[100:101], s[6:7], v[30:31]
	s_barrier
	buffer_gl0_inv
	ds_store_2addr_b64 v117, v[40:41], v[60:61] offset1:8
	ds_store_b64 v117, v[12:13] offset:128
	ds_store_2addr_b64 v125, v[42:43], v[94:95] offset1:8
	ds_store_b64 v125, v[14:15] offset:128
	;; [unrolled: 2-line block ×8, first 2 shown]
	s_waitcnt lgkmcnt(0)
	s_barrier
	buffer_gl0_inv
	ds_load_2addr_b64 v[12:15], v133 offset1:63
	ds_load_2addr_b64 v[44:47], v119 offset0:120 offset1:183
	ds_load_2addr_b64 v[40:43], v138 offset0:112 offset1:175
	;; [unrolled: 1-line block ×11, first 2 shown]
	s_waitcnt lgkmcnt(0)
	s_barrier
	buffer_gl0_inv
	ds_store_2addr_b64 v117, v[48:49], v[76:77] offset1:8
	ds_store_b64 v117, v[78:79] offset:128
	ds_store_2addr_b64 v125, v[56:57], v[80:81] offset1:8
	ds_store_b64 v125, v[82:83] offset:128
	ds_store_2addr_b64 v190, v[50:51], v[86:87] offset1:8
	ds_store_b64 v190, v[106:107] offset:128
	ds_store_2addr_b64 v191, v[58:59], v[108:109] offset1:8
	ds_store_b64 v191, v[110:111] offset:128
	ds_store_2addr_b64 v192, v[64:65], v[142:143] offset1:8
	ds_store_b64 v192, v[88:89] offset:128
	ds_store_2addr_b64 v193, v[66:67], v[144:145] offset1:8
	ds_store_b64 v193, v[92:93] offset:128
	ds_store_2addr_b64 v196, v[68:69], v[146:147] offset1:8
	ds_store_b64 v196, v[96:97] offset:128
	ds_store_2addr_b64 v115, v[72:73], v[148:149] offset1:8
	ds_store_b64 v115, v[100:101] offset:128
	s_waitcnt lgkmcnt(0)
	s_barrier
	buffer_gl0_inv
	s_clause 0x1
	global_load_b128 v[84:87], v197, s[4:5] offset:352
	global_load_b128 v[108:111], v197, s[4:5] offset:368
	v_mul_u32_u24_e32 v52, 0xaaab, v130
	v_mul_u32_u24_e32 v53, 0xaaab, v131
	v_lshrrev_b16 v148, 12, v209
	v_lshrrev_b16 v149, 12, v210
	v_lshlrev_b32_e32 v198, 5, v113
	v_lshrrev_b32_e32 v151, 20, v52
	v_lshrrev_b32_e32 v152, 20, v53
	v_mul_lo_u16 v52, v148, 24
	v_mul_lo_u16 v53, v149, 24
	s_clause 0x1
	global_load_b128 v[48:51], v198, s[4:5] offset:352
	global_load_b128 v[68:71], v198, s[4:5] offset:368
	v_mul_lo_u16 v55, v151, 24
	v_mul_lo_u16 v56, v152, 24
	v_sub_nc_u16 v52, v132, v52
	v_sub_nc_u16 v53, v195, v53
	v_and_b32_e32 v153, 0xffff, v120
	v_sub_nc_u16 v55, v122, v55
	v_sub_nc_u16 v56, v123, v56
	v_and_b32_e32 v115, 0xff, v52
	v_and_b32_e32 v125, 0xff, v53
	v_mul_u32_u24_e32 v54, 0xaaab, v129
	v_and_b32_e32 v143, 0xffff, v55
	v_and_b32_e32 v144, 0xffff, v56
	v_mul_u32_u24_e32 v57, 0xaaab, v153
	v_lshlrev_b32_e32 v52, 5, v115
	v_lshlrev_b32_e32 v53, 5, v125
	v_lshlrev_b32_e32 v64, 5, v143
	v_lshlrev_b32_e32 v65, 5, v144
	v_lshrrev_b32_e32 v150, 20, v54
	v_lshrrev_b32_e32 v145, 20, v57
	s_clause 0x5
	global_load_b128 v[72:75], v52, s[4:5] offset:352
	global_load_b128 v[56:59], v53, s[4:5] offset:352
	;; [unrolled: 1-line block ×6, first 2 shown]
	v_mov_b32_e32 v117, 0
	v_mul_lo_u16 v66, v150, 24
	v_mul_lo_u16 v92, v145, 24
	v_add_nc_u32_e32 v142, -9, v194
	v_mul_u32_u24_e32 v157, 0xe38f, v131
	v_lshlrev_b64 v[154:155], 4, v[116:117]
	v_sub_nc_u16 v93, v121, v66
	v_sub_nc_u16 v92, v120, v92
	s_clause 0x1
	global_load_b128 v[80:83], v64, s[4:5] offset:368
	global_load_b128 v[64:67], v65, s[4:5] offset:368
	v_cndmask_b32_e64 v142, v142, v124, s0
	v_mul_lo_u16 v124, v127, 57
	v_and_b32_e32 v146, 0xffff, v93
	v_and_b32_e32 v147, 0xffff, v92
	v_mul_lo_u16 v127, v128, 57
	v_mul_u32_u24_e32 v128, 0xe38f, v130
	v_add_co_u32 v130, s0, s4, v154
	v_lshlrev_b32_e32 v100, 5, v146
	v_lshlrev_b32_e32 v104, 5, v147
	s_clause 0x3
	global_load_b128 v[92:95], v100, s[4:5] offset:352
	global_load_b128 v[96:99], v104, s[4:5] offset:352
	;; [unrolled: 1-line block ×4, first 2 shown]
	ds_load_2addr_b64 v[158:161], v119 offset0:120 offset1:183
	v_mul_u32_u24_e32 v162, 0xe38f, v129
	v_add_co_ci_u32_e64 v131, s0, s5, v155, s0
	v_and_b32_e32 v164, 0xffff, v126
	v_lshrrev_b16 v155, 12, v127
	v_lshrrev_b32_e32 v156, 22, v128
	ds_load_2addr_b64 v[126:129], v138 offset0:112 offset1:175
	ds_load_2addr_b64 v[166:169], v136 offset0:110 offset1:173
	;; [unrolled: 1-line block ×3, first 2 shown]
	v_mul_u32_u24_e32 v163, 0xe38f, v153
	v_lshrrev_b32_e32 v153, 22, v162
	v_and_b32_e32 v201, 0xffff, v148
	v_and_b32_e32 v202, 0xffff, v149
	v_lshrrev_b32_e32 v157, 22, v157
	v_lshrrev_b16 v154, 12, v124
	v_mul_lo_u16 v190, 0x48, v153
	v_lshrrev_b32_e32 v124, 22, v163
	v_mul_lo_u16 v186, 0x48, v156
	v_mul_lo_u16 v187, 0x48, v157
	v_mul_u32_u24_e32 v200, 0x240, v164
	v_sub_nc_u16 v208, v121, v190
	ds_load_2addr_b64 v[162:165], v140 offset0:118 offset1:181
	v_mul_lo_u16 v205, 0x48, v124
	ds_load_2addr_b64 v[180:183], v118 offset0:108 offset1:171
	v_sub_nc_u16 v206, v122, v186
	v_sub_nc_u16 v207, v123, v187
	ds_load_2addr_b64 v[121:124], v135 offset0:114 offset1:177
	v_and_b32_e32 v114, 0xffff, v114
	v_lshlrev_b32_e32 v112, 3, v112
	v_lshlrev_b32_e32 v113, 3, v113
	v_mul_u32_u24_e32 v203, 0x240, v151
	v_mul_u32_u24_e32 v204, 0x240, v152
	;; [unrolled: 1-line block ×3, first 2 shown]
	v_add3_u32 v200, 0, v200, v112
	v_sub_nc_u16 v205, v120, v205
	v_mul_lo_u16 v120, 0x48, v155
	v_lshlrev_b32_e32 v115, 3, v115
	v_add3_u32 v210, 0, v114, v113
	v_mul_u32_u24_e32 v114, 0x240, v201
	v_mul_u32_u24_e32 v150, 0x240, v150
	v_sub_nc_u16 v120, v195, v120
	v_mul_u32_u24_e32 v145, 0x240, v145
	v_lshlrev_b32_e32 v116, 1, v142
	v_mul_lo_u16 v209, 0x48, v154
	s_delay_alu instid0(VALU_DEP_2) | instskip(NEXT) | instid1(VALU_DEP_2)
	v_lshlrev_b64 v[116:117], 4, v[116:117]
	v_sub_nc_u16 v209, v132, v209
	s_delay_alu instid0(VALU_DEP_2) | instskip(NEXT) | instid1(VALU_DEP_1)
	v_add_co_u32 v116, s0, s4, v116
	v_add_co_ci_u32_e64 v117, s0, s5, v117, s0
	v_cmp_lt_u32_e64 s0, 8, v194
	s_waitcnt vmcnt(15) lgkmcnt(6)
	v_mul_f64 v[174:175], v[158:159], v[86:87]
	v_mul_f64 v[86:87], v[44:45], v[86:87]
	s_waitcnt vmcnt(14) lgkmcnt(5)
	v_mul_f64 v[148:149], v[126:127], v[110:111]
	v_mul_f64 v[110:111], v[40:41], v[110:111]
	s_waitcnt vmcnt(13)
	v_mul_f64 v[184:185], v[160:161], v[50:51]
	v_mul_f64 v[50:51], v[46:47], v[50:51]
	s_waitcnt vmcnt(12)
	v_mul_f64 v[151:152], v[128:129], v[70:71]
	v_mul_f64 v[70:71], v[42:43], v[70:71]
	s_waitcnt vmcnt(9) lgkmcnt(4)
	v_mul_f64 v[190:191], v[166:167], v[90:91]
	s_waitcnt vmcnt(8)
	v_mul_f64 v[192:193], v[168:169], v[78:79]
	s_waitcnt vmcnt(7) lgkmcnt(3)
	v_mul_f64 v[196:197], v[170:171], v[62:63]
	s_waitcnt vmcnt(6)
	v_mul_f64 v[198:199], v[172:173], v[54:55]
	s_waitcnt lgkmcnt(2)
	v_mul_f64 v[186:187], v[162:163], v[74:75]
	v_mul_f64 v[90:91], v[32:33], v[90:91]
	;; [unrolled: 1-line block ×4, first 2 shown]
	v_fma_f64 v[44:45], v[44:45], v[84:85], v[174:175]
	v_fma_f64 v[158:159], v[158:159], v[84:85], -v[86:87]
	ds_load_2addr_b64 v[84:87], v139 offset0:106 offset1:169
	s_waitcnt vmcnt(5) lgkmcnt(2)
	v_mul_f64 v[174:175], v[180:181], v[82:83]
	v_fma_f64 v[40:41], v[40:41], v[108:109], v[148:149]
	v_fma_f64 v[108:109], v[126:127], v[108:109], -v[110:111]
	v_mul_f64 v[78:79], v[34:35], v[78:79]
	v_mul_f64 v[62:63], v[28:29], v[62:63]
	;; [unrolled: 1-line block ×3, first 2 shown]
	v_fma_f64 v[46:47], v[46:47], v[48:49], v[184:185]
	s_waitcnt vmcnt(4)
	v_mul_f64 v[184:185], v[182:183], v[66:67]
	v_fma_f64 v[48:49], v[160:161], v[48:49], -v[50:51]
	v_mul_f64 v[50:51], v[36:37], v[74:75]
	s_waitcnt vmcnt(3) lgkmcnt(1)
	v_mul_f64 v[74:75], v[121:122], v[94:95]
	s_waitcnt vmcnt(2)
	v_mul_f64 v[112:113], v[123:124], v[98:99]
	v_fma_f64 v[42:43], v[42:43], v[68:69], v[151:152]
	v_fma_f64 v[68:69], v[128:129], v[68:69], -v[70:71]
	v_mul_u32_u24_e32 v151, 0x240, v202
	s_waitcnt vmcnt(1) lgkmcnt(0)
	v_mul_f64 v[160:161], v[84:85], v[102:103]
	s_waitcnt vmcnt(0)
	v_mul_f64 v[110:111], v[86:87], v[106:107]
	v_mul_f64 v[102:103], v[20:21], v[102:103]
	;; [unrolled: 1-line block ×3, first 2 shown]
	v_fma_f64 v[126:127], v[32:33], v[88:89], v[190:191]
	v_mul_f64 v[32:33], v[24:25], v[82:83]
	v_fma_f64 v[148:149], v[34:35], v[76:77], v[192:193]
	v_mul_f64 v[34:35], v[26:27], v[66:67]
	;; [unrolled: 2-line block ×4, first 2 shown]
	v_fma_f64 v[36:37], v[36:37], v[72:73], v[186:187]
	v_fma_f64 v[70:71], v[166:167], v[88:89], -v[90:91]
	v_fma_f64 v[38:39], v[38:39], v[56:57], v[188:189]
	v_fma_f64 v[94:95], v[24:25], v[80:81], v[174:175]
	v_and_b32_e32 v25, 0xff, v120
	v_lshlrev_b32_e32 v120, 3, v125
	v_lshlrev_b32_e32 v125, 3, v143
	;; [unrolled: 1-line block ×5, first 2 shown]
	v_add3_u32 v147, 0, v114, v115
	v_fma_f64 v[56:57], v[164:165], v[56:57], -v[58:59]
	v_fma_f64 v[98:99], v[26:27], v[64:65], v[184:185]
	v_fma_f64 v[58:59], v[168:169], v[76:77], -v[78:79]
	v_fma_f64 v[50:51], v[162:163], v[72:73], -v[50:51]
	v_fma_f64 v[74:75], v[16:17], v[92:93], v[74:75]
	v_fma_f64 v[112:113], v[18:19], v[96:97], v[112:113]
	v_fma_f64 v[60:61], v[170:171], v[60:61], -v[62:63]
	v_fma_f64 v[52:53], v[172:173], v[52:53], -v[54:55]
	ds_load_2addr_b64 v[16:19], v133 offset1:63
	v_add3_u32 v188, 0, v203, v125
	v_add3_u32 v152, 0, v151, v120
	v_fma_f64 v[114:115], v[20:21], v[100:101], v[160:161]
	v_fma_f64 v[110:111], v[22:23], v[104:105], v[110:111]
	v_fma_f64 v[76:77], v[84:85], v[100:101], -v[102:103]
	v_fma_f64 v[78:79], v[86:87], v[104:105], -v[106:107]
	v_add_f64 v[104:105], v[158:159], v[108:109]
	v_add_f64 v[84:85], v[46:47], v[42:43]
	ds_load_2addr_b64 v[20:23], v133 offset0:126 offset1:189
	v_add_f64 v[88:89], v[12:13], v[44:45]
	v_add_f64 v[100:101], v[14:15], v[46:47]
	v_fma_f64 v[62:63], v[180:181], v[80:81], -v[32:33]
	v_add_f64 v[80:81], v[44:45], v[40:41]
	v_fma_f64 v[54:55], v[182:183], v[64:65], -v[34:35]
	v_add_f64 v[44:45], v[44:45], -v[40:41]
	v_fma_f64 v[64:65], v[121:122], v[92:93], -v[28:29]
	v_add_f64 v[92:93], v[158:159], -v[108:109]
	v_fma_f64 v[72:73], v[123:124], v[96:97], -v[30:31]
	v_add_f64 v[124:125], v[48:49], v[68:69]
	v_add_f64 v[86:87], v[36:37], v[126:127]
	s_waitcnt lgkmcnt(1)
	v_add_f64 v[120:121], v[16:17], v[158:159]
	v_add_f64 v[90:91], v[38:39], v[148:149]
	;; [unrolled: 1-line block ×3, first 2 shown]
	ds_load_2addr_b64 v[28:31], v141 offset0:124 offset1:187
	ds_load_2addr_b64 v[32:35], v137 offset0:122 offset1:185
	v_add_f64 v[168:169], v[6:7], v[82:83]
	v_add_f64 v[128:129], v[18:19], v[48:49]
	v_add_f64 v[48:49], v[48:49], -v[68:69]
	v_add_f64 v[46:47], v[46:47], -v[42:43]
	v_add3_u32 v189, 0, v204, v143
	v_add3_u32 v190, 0, v150, v144
	v_add_f64 v[102:103], v[82:83], v[98:99]
	v_add_f64 v[160:161], v[56:57], v[58:59]
	;; [unrolled: 1-line block ×5, first 2 shown]
	v_add3_u32 v191, 0, v145, v146
	v_add_f64 v[143:144], v[8:9], v[36:37]
	v_add_f64 v[145:146], v[50:51], -v[70:71]
	s_waitcnt lgkmcnt(2)
	v_add_f64 v[50:51], v[20:21], v[50:51]
	v_add_f64 v[36:37], v[36:37], -v[126:127]
	v_add_f64 v[106:107], v[74:75], v[114:115]
	v_add_f64 v[122:123], v[112:113], v[110:111]
	s_waitcnt lgkmcnt(1)
	v_add_f64 v[186:187], v[30:31], v[52:53]
	v_add_f64 v[150:151], v[10:11], v[38:39]
	v_fma_f64 v[16:17], v[104:105], -0.5, v[16:17]
	v_fma_f64 v[14:15], v[84:85], -0.5, v[14:15]
	v_add_f64 v[162:163], v[22:23], v[56:57]
	v_add_f64 v[56:57], v[56:57], -v[58:59]
	v_add_f64 v[38:39], v[38:39], -v[148:149]
	v_add_f64 v[170:171], v[60:61], v[62:63]
	v_fma_f64 v[12:13], v[80:81], -0.5, v[12:13]
	v_add_f64 v[172:173], v[52:53], v[54:55]
	v_add_f64 v[52:53], v[52:53], -v[54:55]
	v_add_f64 v[180:181], v[64:65], v[76:77]
	v_add_f64 v[80:81], v[64:65], -v[76:77]
	v_add_f64 v[182:183], v[72:73], v[78:79]
	s_waitcnt lgkmcnt(0)
	v_add_f64 v[64:65], v[32:33], v[64:65]
	v_add_f64 v[84:85], v[34:35], v[72:73]
	v_add_f64 v[72:73], v[72:73], -v[78:79]
	v_fma_f64 v[18:19], v[124:125], -0.5, v[18:19]
	v_fma_f64 v[8:9], v[86:87], -0.5, v[8:9]
	;; [unrolled: 1-line block ×3, first 2 shown]
	v_add_f64 v[164:165], v[4:5], v[66:67]
	v_add_f64 v[166:167], v[60:61], -v[62:63]
	v_add_f64 v[60:61], v[28:29], v[60:61]
	v_fma_f64 v[4:5], v[96:97], -0.5, v[4:5]
	v_add_f64 v[66:67], v[66:67], -v[94:95]
	v_add_f64 v[82:83], v[82:83], -v[98:99]
	v_fma_f64 v[6:7], v[102:103], -0.5, v[6:7]
	v_fma_f64 v[22:23], v[160:161], -0.5, v[22:23]
	;; [unrolled: 1-line block ×3, first 2 shown]
	v_add_f64 v[74:75], v[74:75], -v[114:115]
	v_add_f64 v[86:87], v[112:113], -v[110:111]
	v_add_f64 v[40:41], v[88:89], v[40:41]
	v_add_f64 v[102:103], v[120:121], v[108:109]
	v_add_f64 v[42:43], v[100:101], v[42:43]
	v_add_f64 v[68:69], v[128:129], v[68:69]
	v_add_f64 v[100:101], v[184:185], v[110:111]
	v_fma_f64 v[0:1], v[106:107], -0.5, v[0:1]
	v_fma_f64 v[2:3], v[122:123], -0.5, v[2:3]
	v_add_f64 v[88:89], v[143:144], v[126:127]
	v_add_f64 v[70:71], v[50:51], v[70:71]
	v_add_f64 v[90:91], v[150:151], v[148:149]
	v_add_f64 v[96:97], v[168:169], v[98:99]
	v_add_f64 v[98:99], v[174:175], v[114:115]
	v_add_f64 v[58:59], v[162:163], v[58:59]
	v_and_b32_e32 v24, 0xff, v209
	v_fma_f64 v[28:29], v[170:171], -0.5, v[28:29]
	v_fma_f64 v[104:105], v[92:93], s[6:7], v[12:13]
	v_fma_f64 v[30:31], v[172:173], -0.5, v[30:31]
	v_fma_f64 v[12:13], v[92:93], s[8:9], v[12:13]
	;; [unrolled: 2-line block ×3, first 2 shown]
	v_fma_f64 v[34:35], v[182:183], -0.5, v[34:35]
	v_add_f64 v[64:65], v[64:65], v[76:77]
	v_fma_f64 v[76:77], v[44:45], s[8:9], v[16:17]
	v_fma_f64 v[14:15], v[48:49], s[8:9], v[14:15]
	;; [unrolled: 1-line block ×7, first 2 shown]
	v_add_f64 v[94:95], v[164:165], v[94:95]
	v_fma_f64 v[56:57], v[166:167], s[6:7], v[4:5]
	v_add_f64 v[60:61], v[60:61], v[62:63]
	v_fma_f64 v[4:5], v[166:167], s[8:9], v[4:5]
	v_fma_f64 v[108:109], v[52:53], s[6:7], v[6:7]
	;; [unrolled: 1-line block ×7, first 2 shown]
	v_add_f64 v[62:63], v[186:187], v[54:55]
	v_and_b32_e32 v26, 0xffff, v206
	v_and_b32_e32 v27, 0xffff, v207
	v_fma_f64 v[52:53], v[80:81], s[6:7], v[0:1]
	v_fma_f64 v[0:1], v[80:81], s[8:9], v[0:1]
	v_fma_f64 v[80:81], v[72:73], s[6:7], v[2:3]
	v_fma_f64 v[2:3], v[72:73], s[8:9], v[2:3]
	v_add_f64 v[72:73], v[84:85], v[78:79]
	v_fma_f64 v[78:79], v[44:45], s[6:7], v[16:17]
	v_fma_f64 v[84:85], v[46:47], s[8:9], v[18:19]
	s_barrier
	buffer_gl0_inv
	v_fma_f64 v[120:121], v[66:67], s[8:9], v[28:29]
	v_fma_f64 v[66:67], v[66:67], s[6:7], v[28:29]
	;; [unrolled: 1-line block ×8, first 2 shown]
	ds_store_2addr_b64 v200, v[40:41], v[104:105] offset1:24
	ds_store_b64 v200, v[12:13] offset:384
	ds_store_2addr_b64 v210, v[42:43], v[92:93] offset1:24
	ds_store_b64 v210, v[14:15] offset:384
	;; [unrolled: 2-line block ×8, first 2 shown]
	s_waitcnt lgkmcnt(0)
	s_barrier
	buffer_gl0_inv
	ds_load_2addr_b64 v[0:3], v133 offset1:63
	ds_load_2addr_b64 v[4:7], v119 offset0:120 offset1:183
	ds_load_2addr_b64 v[8:11], v138 offset0:112 offset1:175
	;; [unrolled: 1-line block ×11, first 2 shown]
	s_waitcnt lgkmcnt(0)
	s_barrier
	buffer_gl0_inv
	ds_store_2addr_b64 v200, v[102:103], v[76:77] offset1:24
	ds_store_b64 v200, v[78:79] offset:384
	ds_store_2addr_b64 v210, v[68:69], v[84:85] offset1:24
	ds_store_b64 v210, v[110:111] offset:384
	;; [unrolled: 2-line block ×8, first 2 shown]
	v_lshlrev_b32_e32 v36, 5, v24
	s_waitcnt lgkmcnt(0)
	s_barrier
	buffer_gl0_inv
	s_clause 0x1
	global_load_b128 v[56:59], v[130:131], off offset:1120
	global_load_b128 v[60:63], v[116:117], off offset:1120
	v_lshlrev_b32_e32 v37, 5, v25
	s_clause 0x1
	global_load_b128 v[64:67], v[130:131], off offset:1136
	global_load_b128 v[68:71], v[116:117], off offset:1136
	v_lshlrev_b32_e32 v38, 5, v26
	v_and_b32_e32 v152, 0xffff, v208
	s_clause 0x1
	global_load_b128 v[104:107], v36, s[4:5] offset:1120
	global_load_b128 v[114:117], v37, s[4:5] offset:1120
	v_lshlrev_b32_e32 v39, 5, v27
	s_clause 0x1
	global_load_b128 v[120:123], v36, s[4:5] offset:1136
	global_load_b128 v[124:127], v37, s[4:5] offset:1136
	v_and_b32_e32 v174, 0xffff, v205
	s_clause 0x1
	global_load_b128 v[128:131], v38, s[4:5] offset:1120
	global_load_b128 v[143:146], v39, s[4:5] offset:1120
	v_lshlrev_b32_e32 v36, 5, v152
	v_lshlrev_b32_e32 v37, 5, v174
	s_clause 0x5
	global_load_b128 v[147:150], v38, s[4:5] offset:1136
	global_load_b128 v[158:161], v39, s[4:5] offset:1136
	;; [unrolled: 1-line block ×6, first 2 shown]
	ds_load_2addr_b64 v[108:111], v119 offset0:120 offset1:183
	ds_load_2addr_b64 v[184:187], v138 offset0:112 offset1:175
	;; [unrolled: 1-line block ×8, first 2 shown]
	s_waitcnt vmcnt(15) lgkmcnt(7)
	v_mul_f64 v[36:37], v[108:109], v[58:59]
	s_waitcnt vmcnt(14)
	v_mul_f64 v[38:39], v[110:111], v[62:63]
	s_waitcnt vmcnt(13) lgkmcnt(6)
	v_mul_f64 v[72:73], v[184:185], v[66:67]
	s_waitcnt vmcnt(12)
	v_mul_f64 v[74:75], v[186:187], v[70:71]
	v_mul_f64 v[58:59], v[4:5], v[58:59]
	s_waitcnt vmcnt(11) lgkmcnt(5)
	v_mul_f64 v[78:79], v[188:189], v[106:107]
	s_waitcnt vmcnt(10)
	v_mul_f64 v[80:81], v[190:191], v[116:117]
	s_waitcnt vmcnt(9) lgkmcnt(4)
	v_mul_f64 v[82:83], v[196:197], v[122:123]
	s_waitcnt vmcnt(8)
	v_mul_f64 v[84:85], v[198:199], v[126:127]
	v_mul_f64 v[66:67], v[8:9], v[66:67]
	s_waitcnt vmcnt(7) lgkmcnt(3)
	v_mul_f64 v[86:87], v[200:201], v[130:131]
	s_waitcnt vmcnt(5) lgkmcnt(2)
	v_mul_f64 v[92:93], v[204:205], v[149:150]
	v_mul_f64 v[90:91], v[202:203], v[145:146]
	s_waitcnt vmcnt(4)
	v_mul_f64 v[94:95], v[206:207], v[160:161]
	s_waitcnt vmcnt(3) lgkmcnt(1)
	v_mul_f64 v[96:97], v[208:209], v[164:165]
	s_waitcnt vmcnt(2) lgkmcnt(0)
	v_mul_f64 v[98:99], v[212:213], v[168:169]
	s_waitcnt vmcnt(1)
	v_mul_f64 v[112:113], v[210:211], v[172:173]
	s_waitcnt vmcnt(0)
	v_mul_f64 v[118:119], v[214:215], v[182:183]
	v_mul_f64 v[106:107], v[16:17], v[106:107]
	;; [unrolled: 1-line block ×5, first 2 shown]
	v_fma_f64 v[76:77], v[4:5], v[56:57], v[36:37]
	v_mul_f64 v[4:5], v[20:21], v[122:123]
	v_fma_f64 v[88:89], v[8:9], v[64:65], v[72:73]
	v_fma_f64 v[36:37], v[6:7], v[60:61], v[38:39]
	v_mul_f64 v[6:7], v[22:23], v[126:127]
	v_fma_f64 v[38:39], v[10:11], v[68:69], v[74:75]
	v_mul_f64 v[8:9], v[32:33], v[130:131]
	v_fma_f64 v[74:75], v[16:17], v[104:105], v[78:79]
	v_fma_f64 v[82:83], v[20:21], v[120:121], v[82:83]
	v_mul_f64 v[10:11], v[34:35], v[145:146]
	v_fma_f64 v[72:73], v[18:19], v[114:115], v[80:81]
	;; [unrolled: 3-line block ×4, first 2 shown]
	v_fma_f64 v[100:101], v[42:43], v[158:159], v[94:95]
	v_mul_f64 v[20:21], v[48:49], v[164:165]
	v_mul_f64 v[32:33], v[52:53], v[168:169]
	v_fma_f64 v[94:95], v[48:49], v[162:163], v[96:97]
	v_fma_f64 v[102:103], v[52:53], v[166:167], v[98:99]
	v_mul_f64 v[22:23], v[50:51], v[172:173]
	v_mul_f64 v[34:35], v[54:55], v[182:183]
	v_fma_f64 v[86:87], v[50:51], v[170:171], v[112:113]
	v_fma_f64 v[96:97], v[54:55], v[180:181], v[118:119]
	v_fma_f64 v[108:109], v[108:109], v[56:57], -v[58:59]
	v_fma_f64 v[90:91], v[184:185], v[64:65], -v[66:67]
	;; [unrolled: 1-line block ×6, first 2 shown]
	v_mul_u32_u24_e32 v145, 0x6c0, v156
	v_mul_u32_u24_e32 v146, 0x6c0, v157
	v_fma_f64 v[104:105], v[196:197], v[120:121], -v[4:5]
	v_add_f64 v[4:5], v[76:77], v[88:89]
	v_add_f64 v[40:41], v[2:3], v[36:37]
	v_fma_f64 v[106:107], v[198:199], v[124:125], -v[6:7]
	v_add_f64 v[6:7], v[36:37], v[38:39]
	v_fma_f64 v[116:117], v[200:201], v[128:129], -v[8:9]
	v_add_f64 v[42:43], v[12:13], v[74:75]
	v_add_f64 v[8:9], v[74:75], v[82:83]
	v_fma_f64 v[120:121], v[202:203], v[143:144], -v[10:11]
	v_add_f64 v[48:49], v[14:15], v[72:73]
	;; [unrolled: 3-line block ×4, first 2 shown]
	v_add_f64 v[18:19], v[80:81], v[100:101]
	v_fma_f64 v[126:127], v[208:209], v[162:163], -v[20:21]
	v_fma_f64 v[124:125], v[212:213], v[166:167], -v[32:33]
	v_add_f64 v[32:33], v[0:1], v[76:77]
	v_add_f64 v[20:21], v[94:95], v[102:103]
	v_fma_f64 v[130:131], v[210:211], v[170:171], -v[22:23]
	v_fma_f64 v[128:129], v[214:215], v[180:181], -v[34:35]
	v_add_f64 v[56:57], v[46:47], v[86:87]
	v_add_f64 v[22:23], v[86:87], v[96:97]
	;; [unrolled: 1-line block ×3, first 2 shown]
	v_add_f64 v[34:35], v[108:109], -v[90:91]
	v_and_b32_e32 v143, 0xffff, v154
	v_and_b32_e32 v144, 0xffff, v155
	v_add_f64 v[58:59], v[110:111], -v[98:99]
                                        ; implicit-def: $vgpr180_vgpr181
	v_fma_f64 v[4:5], v[4:5], -0.5, v[0:1]
	v_cndmask_b32_e64 v0, 0, 0x6c0, s0
	v_lshlrev_b32_e32 v1, 3, v142
	v_fma_f64 v[2:3], v[6:7], -0.5, v[2:3]
	v_add_f64 v[6:7], v[112:113], -v[104:105]
	v_add_f64 v[40:41], v[40:41], v[38:39]
	v_fma_f64 v[8:9], v[8:9], -0.5, v[12:13]
	v_add_f64 v[12:13], v[114:115], -v[106:107]
	v_add3_u32 v142, 0, v0, v1
	v_fma_f64 v[10:11], v[10:11], -0.5, v[14:15]
	v_add_f64 v[14:15], v[116:117], -v[118:119]
	v_add_f64 v[42:43], v[42:43], v[82:83]
	v_fma_f64 v[16:17], v[16:17], -0.5, v[28:29]
	v_add_f64 v[28:29], v[120:121], -v[122:123]
	v_add_f64 v[48:49], v[48:49], v[78:79]
	v_fma_f64 v[18:19], v[18:19], -0.5, v[30:31]
	v_add_f64 v[50:51], v[50:51], v[92:93]
	v_add_f64 v[30:31], v[126:127], -v[124:125]
	v_add_f64 v[52:53], v[52:53], v[100:101]
	v_fma_f64 v[20:21], v[20:21], -0.5, v[44:45]
	v_cmp_gt_u32_e64 s0, 27, v194
	v_add_f64 v[44:45], v[130:131], -v[128:129]
	v_add_f64 v[0:1], v[56:57], v[96:97]
	v_fma_f64 v[22:23], v[22:23], -0.5, v[46:47]
	v_add_f64 v[46:47], v[32:33], v[88:89]
	v_add_f64 v[54:55], v[54:55], v[102:103]
	v_fma_f64 v[56:57], v[34:35], s[6:7], v[4:5]
	v_fma_f64 v[60:61], v[34:35], s[8:9], v[4:5]
	;; [unrolled: 1-line block ×8, first 2 shown]
	v_mul_u32_u24_e32 v13, 0x6c0, v143
	v_fma_f64 v[66:67], v[14:15], s[6:7], v[16:17]
	v_fma_f64 v[68:69], v[14:15], s[8:9], v[16:17]
	v_lshlrev_b32_e32 v15, 3, v24
	v_fma_f64 v[70:71], v[28:29], s[6:7], v[18:19]
	v_fma_f64 v[28:29], v[28:29], s[8:9], v[18:19]
	v_mul_u32_u24_e32 v12, 0x6c0, v153
	v_mul_u32_u24_e32 v14, 0x6c0, v144
	v_fma_f64 v[150:151], v[30:31], s[6:7], v[20:21]
	v_fma_f64 v[30:31], v[30:31], s[8:9], v[20:21]
	v_lshlrev_b32_e32 v16, 3, v25
	v_lshlrev_b32_e32 v17, 3, v26
	v_fma_f64 v[2:3], v[44:45], s[6:7], v[22:23]
	v_fma_f64 v[4:5], v[44:45], s[8:9], v[22:23]
	v_lshlrev_b32_e32 v18, 3, v27
	v_lshlrev_b32_e32 v19, 3, v152
	v_lshl_add_u32 v143, v174, 3, 0
	v_add3_u32 v149, 0, v13, v15
	v_add3_u32 v148, 0, v14, v16
	;; [unrolled: 1-line block ×5, first 2 shown]
	v_add_nc_u32_e32 v145, 0x2800, v143
	ds_load_2addr_b64 v[32:35], v133 offset1:63
	ds_load_2addr_b64 v[20:23], v133 offset0:126 offset1:189
	ds_load_2addr_b64 v[16:19], v141 offset0:124 offset1:187
	ds_load_2addr_b64 v[12:15], v137 offset0:122 offset1:185
	s_waitcnt lgkmcnt(0)
	s_barrier
	buffer_gl0_inv
	ds_store_2addr_b64 v133, v[46:47], v[56:57] offset1:72
	ds_store_b64 v133, v[60:61] offset:1152
	ds_store_2addr_b64 v142, v[40:41], v[62:63] offset1:72
	ds_store_b64 v142, v[58:59] offset:1152
	;; [unrolled: 2-line block ×7, first 2 shown]
	ds_store_2addr_b64 v145, v[0:1], v[2:3] offset0:16 offset1:88
	ds_store_b64 v143, v[4:5] offset:11520
	s_waitcnt lgkmcnt(0)
	s_barrier
	buffer_gl0_inv
	ds_load_2addr_b64 v[24:27], v133 offset1:63
	ds_load_b64 v[186:187], v133 offset:11376
	ds_load_2addr_b64 v[28:31], v133 offset0:126 offset1:216
	ds_load_2addr_b64 v[48:51], v137 offset0:176 offset1:239
	;; [unrolled: 1-line block ×9, first 2 shown]
                                        ; implicit-def: $vgpr10_vgpr11
	s_and_saveexec_b32 s1, s0
	s_cbranch_execz .LBB0_15
; %bb.14:
	v_add_nc_u32_e32 v0, 0x500, v133
	v_add_nc_u32_e32 v4, 0x1300, v133
	ds_load_2addr_b64 v[8:11], v136 offset0:29 offset1:245
	ds_load_2addr_b64 v[0:3], v0 offset0:29 offset1:245
	;; [unrolled: 1-line block ×3, first 2 shown]
	ds_load_b64 v[180:181], v133 offset:11880
.LBB0_15:
	s_or_b32 exec_lo, exec_lo, s1
	v_add_f64 v[150:151], v[108:109], v[90:91]
	v_add_f64 v[152:153], v[110:111], v[98:99]
	;; [unrolled: 1-line block ×9, first 2 shown]
	v_add_f64 v[76:77], v[76:77], -v[88:89]
	v_add_f64 v[88:89], v[34:35], v[110:111]
	v_add_f64 v[36:37], v[36:37], -v[38:39]
	v_add_f64 v[110:111], v[20:21], v[112:113]
	;; [unrolled: 2-line block ×7, first 2 shown]
	v_add_f64 v[84:85], v[86:87], -v[96:97]
	s_waitcnt lgkmcnt(0)
	s_barrier
	buffer_gl0_inv
                                        ; implicit-def: $vgpr182_vgpr183
	v_fma_f64 v[32:33], v[150:151], -0.5, v[32:33]
	v_fma_f64 v[34:35], v[152:153], -0.5, v[34:35]
	;; [unrolled: 1-line block ×8, first 2 shown]
	v_add_f64 v[90:91], v[108:109], v[90:91]
	v_add_f64 v[88:89], v[88:89], v[98:99]
	;; [unrolled: 1-line block ×8, first 2 shown]
	v_fma_f64 v[102:103], v[76:77], s[8:9], v[32:33]
	v_fma_f64 v[32:33], v[76:77], s[6:7], v[32:33]
	;; [unrolled: 1-line block ×16, first 2 shown]
	ds_store_2addr_b64 v133, v[90:91], v[102:103] offset1:72
	ds_store_b64 v133, v[32:33] offset:1152
	ds_store_2addr_b64 v142, v[88:89], v[76:77] offset1:72
	ds_store_b64 v142, v[34:35] offset:1152
	ds_store_2addr_b64 v149, v[92:93], v[36:37] offset1:72
	ds_store_b64 v149, v[20:21] offset:1152
	ds_store_2addr_b64 v148, v[94:95], v[38:39] offset1:72
	ds_store_b64 v148, v[22:23] offset:1152
	ds_store_2addr_b64 v147, v[96:97], v[72:73] offset1:72
	ds_store_b64 v147, v[74:75] offset:1152
	ds_store_2addr_b64 v146, v[98:99], v[104:105] offset1:72
	ds_store_b64 v146, v[18:19] offset:1152
	ds_store_2addr_b64 v144, v[100:101], v[78:79] offset1:72
	ds_store_b64 v144, v[80:81] offset:1152
	ds_store_2addr_b64 v145, v[12:13], v[14:15] offset0:16 offset1:88
	ds_store_b64 v143, v[16:17] offset:11520
	s_waitcnt lgkmcnt(0)
	s_barrier
	buffer_gl0_inv
	ds_load_2addr_b64 v[32:35], v133 offset1:63
	ds_load_2addr_b64 v[36:39], v133 offset0:126 offset1:216
	ds_load_2addr_b64 v[84:87], v137 offset0:176 offset1:239
	;; [unrolled: 1-line block ×9, first 2 shown]
	ds_load_b64 v[188:189], v133 offset:11376
                                        ; implicit-def: $vgpr22_vgpr23
	s_and_saveexec_b32 s1, s0
	s_cbranch_execz .LBB0_17
; %bb.16:
	v_add_nc_u32_e32 v12, 0x500, v133
	v_add_nc_u32_e32 v16, 0x1300, v133
	;; [unrolled: 1-line block ×3, first 2 shown]
	ds_load_2addr_b64 v[12:15], v12 offset0:29 offset1:245
	ds_load_2addr_b64 v[16:19], v16 offset0:13 offset1:229
	;; [unrolled: 1-line block ×3, first 2 shown]
	ds_load_b64 v[182:183], v133 offset:11880
.LBB0_17:
	s_or_b32 exec_lo, exec_lo, s1
	s_and_saveexec_b32 s1, vcc_lo
	s_cbranch_execz .LBB0_20
; %bb.18:
	v_mul_u32_u24_e32 v104, 6, v132
	v_mad_u32_u24 v184, v132, 6, 0xfffffe86
	v_mul_lo_u32 v179, s2, v179
	v_mad_u64_u32 v[190:191], null, s2, v178, 0
	s_delay_alu instid0(VALU_DEP_4)
	v_dual_mov_b32 v185, 0 :: v_dual_lshlrev_b32 v106, 4, v104
	v_mul_u32_u24_e32 v104, 6, v194
	v_add_nc_u32_e32 v193, 0x7e, v194
	v_lshrrev_b32_e32 v196, 3, v194
	v_add_nc_u32_e32 v192, 63, v194
	global_load_b128 v[136:139], v106, s[4:5] offset:3472
	v_lshlrev_b32_e32 v107, 4, v104
	v_lshlrev_b64 v[104:105], 4, v[184:185]
	v_mul_lo_u32 v184, s3, v178
	v_lshrrev_b32_e32 v198, 3, v193
	v_mul_hi_u32 v196, 0x97b425f, v196
	v_lshrrev_b32_e32 v197, 3, v192
	v_lshlrev_b64 v[177:178], 4, v[176:177]
	v_add_co_u32 v108, vcc_lo, s4, v104
	v_mul_hi_u32 v200, 0x97b425f, v198
	v_add3_u32 v191, v191, v179, v184
	v_mul_hi_u32 v199, 0x97b425f, v197
	v_mul_lo_u32 v179, 0xd8, v196
	v_add_co_ci_u32_e32 v109, vcc_lo, s5, v105, vcc_lo
	s_delay_alu instid0(VALU_DEP_4)
	v_lshlrev_b64 v[190:191], 4, v[190:191]
	s_mov_b32 s20, 0xe976ee23
	v_mul_lo_u32 v197, 0xd8, v200
	s_mov_b32 s24, 0x37e14327
	v_mul_lo_u32 v184, 0xd8, v199
	v_sub_nc_u32_e32 v198, v194, v179
	v_add_co_u32 v190, s1, s10, v190
	s_delay_alu instid0(VALU_DEP_1) | instskip(SKIP_1) | instid1(VALU_DEP_2)
	v_add_co_ci_u32_e64 v191, s1, s11, v191, s1
	s_mov_b32 s18, 0x36b3c0b5
	v_add_co_u32 v179, s1, v190, v177
	s_delay_alu instid0(VALU_DEP_1)
	v_add_co_ci_u32_e64 v196, s1, v191, v178, s1
	v_sub_nc_u32_e32 v177, v193, v197
	v_lshlrev_b32_e32 v178, 4, v198
	s_mov_b32 s14, 0x429ad128
	s_mov_b32 s21, 0x3fe11646
	;; [unrolled: 1-line block ×4, first 2 shown]
	v_mad_u64_u32 v[190:191], null, 0x5e8, v200, v[177:178]
	v_mov_b32_e32 v191, v185
	v_sub_nc_u32_e32 v184, v192, v184
	v_add_co_u32 v177, s1, v179, v178
	s_delay_alu instid0(VALU_DEP_1) | instskip(NEXT) | instid1(VALU_DEP_3)
	v_add_co_ci_u32_e64 v178, s1, 0, v196, s1
	v_mad_u64_u32 v[197:198], null, 0x5e8, v199, v[184:185]
	v_mov_b32_e32 v198, v185
	s_clause 0x10
	global_load_b128 v[164:167], v107, s[4:5] offset:3488
	global_load_b128 v[172:175], v106, s[4:5] offset:3504
	global_load_b128 v[168:171], v106, s[4:5] offset:3424
	global_load_b128 v[160:163], v107, s[4:5] offset:3504
	global_load_b128 v[156:159], v107, s[4:5] offset:3440
	global_load_b128 v[152:155], v107, s[4:5] offset:3424
	global_load_b128 v[148:151], v106, s[4:5] offset:3488
	global_load_b128 v[144:147], v106, s[4:5] offset:3440
	global_load_b128 v[140:143], v106, s[4:5] offset:3456
	global_load_b128 v[112:115], v107, s[4:5] offset:3472
	global_load_b128 v[116:119], v107, s[4:5] offset:3456
	global_load_b128 v[124:127], v[108:109], off offset:3424
	global_load_b128 v[128:131], v[108:109], off offset:3504
	;; [unrolled: 1-line block ×6, first 2 shown]
	v_add_co_u32 v192, s1, 0x1000, v177
	s_delay_alu instid0(VALU_DEP_1)
	v_add_co_ci_u32_e64 v193, s1, 0, v178, s1
	v_lshlrev_b64 v[207:208], 4, v[197:198]
	v_lshlrev_b64 v[209:210], 4, v[190:191]
	v_add_nc_u32_e32 v184, 0xd8, v197
	s_mov_b32 s15, 0xbfebfeb5
	s_mov_b32 s6, 0xb247c609
	;; [unrolled: 1-line block ×4, first 2 shown]
	v_lshlrev_b64 v[211:212], 4, v[184:185]
	v_add_nc_u32_e32 v184, 0x1b0, v197
	s_mov_b32 s7, 0xbfd5d0dc
	s_mov_b32 s9, 0xbff2aaaa
	;; [unrolled: 1-line block ×9, first 2 shown]
	v_add_nc_u32_e32 v176, 0xbd, v194
	s_delay_alu instid0(VALU_DEP_1) | instskip(SKIP_4) | instid1(VALU_DEP_1)
	v_cmp_gt_u32_e32 vcc_lo, 0xd8, v176
	s_waitcnt vmcnt(17) lgkmcnt(5)
	v_mul_f64 v[199:200], v[100:101], v[138:139]
	v_mul_f64 v[201:202], v[68:69], v[138:139]
	v_add_co_u32 v138, s1, 0x2000, v177
	v_add_co_ci_u32_e64 v139, s1, 0, v178, s1
	s_delay_alu instid0(VALU_DEP_4) | instskip(NEXT) | instid1(VALU_DEP_4)
	v_fma_f64 v[198:199], v[68:69], v[136:137], v[199:200]
	v_fma_f64 v[100:101], v[100:101], v[136:137], -v[201:202]
	v_lshlrev_b64 v[136:137], 4, v[184:185]
	v_add_nc_u32_e32 v184, 0x288, v197
	s_waitcnt vmcnt(16)
	v_mul_f64 v[203:204], v[102:103], v[166:167]
	v_mul_f64 v[205:206], v[70:71], v[166:167]
	v_add_co_u32 v166, s1, 0x3000, v177
	s_delay_alu instid0(VALU_DEP_1) | instskip(SKIP_4) | instid1(VALU_DEP_1)
	v_add_co_ci_u32_e64 v167, s1, 0, v178, s1
	s_waitcnt vmcnt(15) lgkmcnt(0)
	v_mul_f64 v[213:214], v[188:189], v[174:175]
	v_mul_f64 v[215:216], v[186:187], v[174:175]
	v_add_co_u32 v174, s1, v179, v207
	v_add_co_ci_u32_e64 v175, s1, v196, v208, s1
	s_waitcnt vmcnt(14)
	v_mul_f64 v[207:208], v[98:99], v[170:171]
	v_mul_f64 v[170:171], v[66:67], v[170:171]
	s_waitcnt vmcnt(13)
	v_mul_f64 v[217:218], v[88:89], v[162:163]
	v_mul_f64 v[219:220], v[56:57], v[162:163]
	v_add_co_u32 v162, s1, v179, v209
	s_delay_alu instid0(VALU_DEP_1)
	v_add_co_ci_u32_e64 v163, s1, v196, v210, s1
	s_waitcnt vmcnt(12)
	v_mul_f64 v[209:210], v[84:85], v[158:159]
	v_mul_f64 v[158:159], v[48:49], v[158:159]
	s_waitcnt vmcnt(11)
	v_mul_f64 v[221:222], v[30:31], v[154:155]
	v_mul_f64 v[223:224], v[38:39], v[154:155]
	;; [unrolled: 3-line block ×3, first 2 shown]
	v_add_co_u32 v154, s1, 0x4000, v177
	s_delay_alu instid0(VALU_DEP_1) | instskip(SKIP_1) | instid1(VALU_DEP_1)
	v_add_co_ci_u32_e64 v155, s1, 0, v178, s1
	v_add_co_u32 v68, s1, v179, v211
	v_add_co_ci_u32_e64 v69, s1, v196, v212, s1
	s_waitcnt vmcnt(6)
	v_mul_f64 v[211:212], v[82:83], v[118:119]
	v_mul_f64 v[118:119], v[54:55], v[118:119]
	v_fma_f64 v[70:71], v[70:71], v[164:165], v[203:204]
	v_mul_f64 v[202:203], v[52:53], v[146:147]
	v_fma_f64 v[102:103], v[102:103], v[164:165], -v[205:206]
	v_mul_f64 v[146:147], v[80:81], v[146:147]
	v_mul_f64 v[164:165], v[78:79], v[142:143]
	;; [unrolled: 1-line block ×3, first 2 shown]
	v_fma_f64 v[186:187], v[186:187], v[172:173], v[213:214]
	v_fma_f64 v[172:173], v[188:189], v[172:173], -v[215:216]
	s_waitcnt vmcnt(5)
	v_mul_f64 v[188:189], v[96:97], v[126:127]
	v_mul_f64 v[126:127], v[64:65], v[126:127]
	;; [unrolled: 1-line block ×4, first 2 shown]
	v_fma_f64 v[66:67], v[66:67], v[168:169], v[207:208]
	v_fma_f64 v[98:99], v[98:99], v[168:169], -v[170:171]
	s_waitcnt vmcnt(4)
	v_mul_f64 v[168:169], v[58:59], v[130:131]
	v_fma_f64 v[56:57], v[56:57], v[160:161], v[217:218]
	v_fma_f64 v[88:89], v[88:89], v[160:161], -v[219:220]
	s_waitcnt vmcnt(3)
	v_mul_f64 v[160:161], v[50:51], v[122:123]
	s_waitcnt vmcnt(2)
	v_mul_f64 v[170:171], v[60:61], v[134:135]
	v_mul_f64 v[130:131], v[90:91], v[130:131]
	;; [unrolled: 1-line block ×4, first 2 shown]
	v_fma_f64 v[48:49], v[48:49], v[156:157], v[209:210]
	v_fma_f64 v[84:85], v[84:85], v[156:157], -v[158:159]
	v_fma_f64 v[156:157], v[38:39], v[152:153], -v[221:222]
	v_fma_f64 v[152:153], v[30:31], v[152:153], v[223:224]
	v_fma_f64 v[94:95], v[94:95], v[148:149], -v[200:201]
	v_add_co_u32 v30, s1, v179, v136
	s_delay_alu instid0(VALU_DEP_1)
	v_add_co_ci_u32_e64 v31, s1, v196, v137, s1
	v_fma_f64 v[62:63], v[62:63], v[148:149], v[150:151]
	s_waitcnt vmcnt(1)
	v_mul_f64 v[136:137], v[74:75], v[106:107]
	s_waitcnt vmcnt(0)
	v_mul_f64 v[148:149], v[76:77], v[110:111]
	v_mul_f64 v[110:111], v[44:45], v[110:111]
	;; [unrolled: 1-line block ×3, first 2 shown]
	v_fma_f64 v[54:55], v[54:55], v[116:117], v[211:212]
	v_fma_f64 v[82:83], v[82:83], v[116:117], -v[118:119]
	v_lshlrev_b64 v[38:39], 4, v[184:185]
	v_fma_f64 v[80:81], v[80:81], v[144:145], -v[202:203]
	v_add_nc_u32_e32 v184, 0x360, v197
	v_fma_f64 v[52:53], v[52:53], v[144:145], v[146:147]
	v_fma_f64 v[146:147], v[46:47], v[140:141], v[164:165]
	v_fma_f64 v[78:79], v[78:79], v[140:141], -v[142:143]
	v_add_co_u32 v38, s1, v179, v38
	v_fma_f64 v[64:65], v[64:65], v[124:125], v[188:189]
	v_fma_f64 v[96:97], v[96:97], v[124:125], -v[126:127]
	v_fma_f64 v[126:127], v[40:41], v[112:113], v[204:205]
	v_fma_f64 v[72:73], v[72:73], v[112:113], -v[114:115]
	v_lshlrev_b64 v[144:145], 4, v[184:185]
	v_add_f64 v[118:119], v[98:99], v[172:173]
	v_fma_f64 v[90:91], v[90:91], v[128:129], -v[168:169]
	v_add_nc_u32_e32 v184, 0x438, v197
	v_add_co_ci_u32_e64 v39, s1, v196, v39, s1
	v_fma_f64 v[86:87], v[86:87], v[120:121], -v[160:161]
	v_fma_f64 v[92:93], v[92:93], v[132:133], -v[170:171]
	v_fma_f64 v[58:59], v[58:59], v[128:129], v[130:131]
	v_fma_f64 v[50:51], v[50:51], v[120:121], v[122:123]
	;; [unrolled: 1-line block ×3, first 2 shown]
	v_add_f64 v[124:125], v[84:85], v[102:103]
	v_add_f64 v[122:123], v[156:157], v[88:89]
	;; [unrolled: 1-line block ×4, first 2 shown]
	v_lshlrev_b64 v[140:141], 4, v[184:185]
	v_add_nc_u32_e32 v184, 0x510, v197
	v_add_co_u32 v46, s1, 0x5000, v177
	s_delay_alu instid0(VALU_DEP_1)
	v_add_co_ci_u32_e64 v47, s1, 0, v178, s1
	v_fma_f64 v[114:115], v[42:43], v[104:105], v[136:137]
	v_fma_f64 v[116:117], v[44:45], v[108:109], v[148:149]
	v_fma_f64 v[76:77], v[76:77], v[108:109], -v[110:111]
	v_fma_f64 v[74:75], v[74:75], v[104:105], -v[106:107]
	v_add_f64 v[106:107], v[66:67], v[186:187]
	v_add_co_u32 v40, s1, v179, v144
	v_add_f64 v[120:121], v[80:81], v[94:95]
	v_add_f64 v[108:109], v[52:53], v[62:63]
	v_add_f64 v[52:53], v[52:53], -v[62:63]
	v_add_f64 v[62:63], v[100:101], v[78:79]
	v_add_f64 v[78:79], v[100:101], -v[78:79]
	v_add_f64 v[80:81], v[80:81], -v[94:95]
	v_lshlrev_b64 v[112:113], 4, v[184:185]
	v_add_co_ci_u32_e64 v41, s1, v196, v145, s1
	v_add_co_u32 v42, s1, v179, v140
	s_delay_alu instid0(VALU_DEP_1)
	v_add_co_ci_u32_e64 v43, s1, v196, v141, s1
	v_add_f64 v[132:133], v[96:97], v[90:91]
	v_add_co_u32 v44, s1, v179, v112
	v_add_f64 v[66:67], v[66:67], -v[186:187]
	v_add_f64 v[134:135], v[86:87], v[92:93]
	v_add_f64 v[94:95], v[64:65], v[58:59]
	v_add_f64 v[110:111], v[198:199], -v[146:147]
	v_add_f64 v[100:101], v[50:51], v[60:61]
	v_add_f64 v[136:137], v[198:199], v[146:147]
	v_add_f64 v[56:57], v[152:153], -v[56:57]
	v_add_f64 v[140:141], v[126:127], -v[54:55]
	;; [unrolled: 1-line block ×6, first 2 shown]
	v_add_co_ci_u32_e64 v45, s1, v196, v113, s1
	v_add_f64 v[72:73], v[72:73], v[82:83]
	v_add_f64 v[54:55], v[126:127], v[54:55]
	v_add_f64 v[112:113], v[122:123], v[124:125]
	v_add_f64 v[126:127], v[128:129], v[130:131]
	v_add_f64 v[98:99], v[98:99], -v[172:173]
	v_add_f64 v[58:59], v[64:65], -v[58:59]
	;; [unrolled: 1-line block ×4, first 2 shown]
	v_add_f64 v[82:83], v[118:119], v[120:121]
	v_add_f64 v[60:61], v[74:75], v[76:77]
	;; [unrolled: 1-line block ×3, first 2 shown]
	v_add_f64 v[74:75], v[74:75], -v[76:77]
	v_add_f64 v[76:77], v[86:87], -v[92:93]
	v_add_f64 v[86:87], v[106:107], v[108:109]
	v_add_f64 v[90:91], v[96:97], -v[90:91]
	v_add_f64 v[116:117], v[118:119], -v[62:63]
	;; [unrolled: 1-line block ×5, first 2 shown]
	v_add_nc_u32_e32 v184, 0xd8, v190
	v_add_f64 v[158:159], v[52:53], -v[66:67]
	v_add_f64 v[144:145], v[132:133], v[134:135]
	s_delay_alu instid0(VALU_DEP_3)
	v_lshlrev_b64 v[104:105], 4, v[184:185]
	v_add_f64 v[92:93], v[66:67], -v[110:111]
	v_add_f64 v[156:157], v[94:95], v[100:101]
	v_add_f64 v[96:97], v[110:111], -v[52:53]
	v_add_f64 v[110:111], v[110:111], v[52:53]
	v_add_f64 v[146:147], v[106:107], -v[136:137]
	v_add_f64 v[148:149], v[136:137], -v[108:109]
	;; [unrolled: 1-line block ×8, first 2 shown]
	v_add_f64 v[48:49], v[140:141], v[48:49]
	v_add_f64 v[140:141], v[72:73], -v[124:125]
	v_add_f64 v[168:169], v[122:123], -v[72:73]
	v_add_f64 v[72:73], v[72:73], v[112:113]
	v_add_f64 v[112:113], v[54:55], v[126:127]
	v_add_f64 v[126:127], v[128:129], -v[54:55]
	v_add_f64 v[150:151], v[98:99], -v[78:79]
	v_add_f64 v[62:63], v[62:63], v[82:83]
	v_add_f64 v[82:83], v[54:55], -v[130:131]
	v_add_f64 v[78:79], v[78:79], v[80:81]
	;; [unrolled: 2-line block ×3, first 2 shown]
	v_add_f64 v[84:85], v[124:125], -v[122:123]
	v_add_f64 v[122:123], v[130:131], -v[128:129]
	;; [unrolled: 1-line block ×8, first 2 shown]
	v_add_f64 v[86:87], v[136:137], v[86:87]
	v_add_f64 v[136:137], v[94:95], -v[114:115]
	v_add_f64 v[186:187], v[58:59], -v[64:65]
	;; [unrolled: 1-line block ×3, first 2 shown]
	v_add_f64 v[60:61], v[60:61], v[144:145]
	v_add_f64 v[64:65], v[64:65], v[50:51]
	v_add_f64 v[80:81], v[80:81], -v[98:99]
	v_add_f64 v[114:115], v[114:115], v[156:157]
	v_add_f64 v[144:145], v[90:91], -v[74:75]
	v_add_f64 v[74:75], v[74:75], v[76:77]
	v_mul_f64 v[76:77], v[96:97], s[20:21]
	v_mul_f64 v[96:97], v[142:143], s[18:19]
	;; [unrolled: 1-line block ×5, first 2 shown]
	v_add_f64 v[132:133], v[134:135], -v[132:133]
	v_mul_f64 v[134:135], v[52:53], s[20:21]
	v_mul_f64 v[108:109], v[108:109], s[20:21]
	;; [unrolled: 1-line block ×5, first 2 shown]
	v_add_f64 v[54:55], v[32:33], v[72:73]
	v_add_f64 v[52:53], v[24:25], v[112:113]
	v_mul_f64 v[24:25], v[168:169], s[24:25]
	v_mul_f64 v[32:33], v[126:127], s[24:25]
	v_add_f64 v[50:51], v[36:37], v[62:63]
	v_mul_f64 v[36:37], v[82:83], s[18:19]
	v_add_f64 v[94:95], v[100:101], -v[94:95]
	v_mul_f64 v[100:101], v[152:153], s[20:21]
	v_add_f64 v[66:67], v[66:67], v[110:111]
	v_add_f64 v[78:79], v[98:99], v[78:79]
	v_mul_f64 v[82:83], v[146:147], s[24:25]
	v_add_f64 v[56:57], v[56:57], v[48:49]
	v_mul_f64 v[98:99], v[124:125], s[20:21]
	v_mul_f64 v[110:111], v[128:129], s[18:19]
	;; [unrolled: 1-line block ×6, first 2 shown]
	v_add_f64 v[48:49], v[28:29], v[86:87]
	v_add_f64 v[70:71], v[88:89], v[70:71]
	v_mul_f64 v[197:198], v[199:200], s[14:15]
	v_add_f64 v[28:29], v[34:35], v[60:61]
	v_add_f64 v[34:35], v[58:59], v[64:65]
	v_mul_f64 v[58:59], v[136:137], s[24:25]
	v_add_f64 v[26:27], v[26:27], v[114:115]
	v_mul_f64 v[88:89], v[80:81], s[14:15]
	v_add_f64 v[64:65], v[90:91], v[74:75]
	v_fma_f64 v[74:75], v[92:93], s[6:7], v[76:77]
	v_fma_f64 v[90:91], v[116:117], s[24:25], v[96:97]
	;; [unrolled: 1-line block ×3, first 2 shown]
	v_fma_f64 v[92:93], v[92:93], s[12:13], -v[148:149]
	v_fma_f64 v[146:147], v[118:119], s[16:17], -v[156:157]
	;; [unrolled: 1-line block ×3, first 2 shown]
	v_fma_f64 v[148:149], v[164:165], s[6:7], v[134:135]
	v_fma_f64 v[156:157], v[170:171], s[6:7], v[108:109]
	v_fma_f64 v[158:159], v[164:165], s[12:13], -v[201:202]
	v_fma_f64 v[164:165], v[170:171], s[12:13], -v[203:204]
	v_fma_f64 v[96:97], v[118:119], s[22:23], -v[96:97]
	v_fma_f64 v[108:109], v[160:161], s[14:15], -v[108:109]
	v_fma_f64 v[118:119], v[168:169], s[24:25], v[140:141]
	v_fma_f64 v[72:73], v[72:73], s[8:9], v[54:55]
	;; [unrolled: 1-line block ×5, first 2 shown]
	v_fma_f64 v[24:25], v[84:85], s[16:17], -v[24:25]
	v_fma_f64 v[32:33], v[122:123], s[16:17], -v[32:33]
	;; [unrolled: 1-line block ×5, first 2 shown]
	v_fma_f64 v[122:123], v[150:151], s[6:7], v[100:101]
	v_fma_f64 v[82:83], v[106:107], s[16:17], -v[82:83]
	v_fma_f64 v[80:81], v[80:81], s[14:15], -v[100:101]
	;; [unrolled: 1-line block ×3, first 2 shown]
	v_fma_f64 v[106:107], v[186:187], s[6:7], v[98:99]
	v_fma_f64 v[134:135], v[188:189], s[24:25], v[110:111]
	v_fma_f64 v[136:137], v[136:137], s[24:25], v[124:125]
	v_fma_f64 v[128:129], v[186:187], s[12:13], -v[128:129]
	v_fma_f64 v[130:131], v[132:133], s[16:17], -v[130:131]
	;; [unrolled: 1-line block ×3, first 2 shown]
	v_fma_f64 v[60:61], v[60:61], s[8:9], v[28:29]
	v_fma_f64 v[132:133], v[144:145], s[6:7], v[152:153]
	v_fma_f64 v[140:141], v[144:145], s[12:13], -v[197:198]
	v_fma_f64 v[114:115], v[114:115], s[8:9], v[26:27]
	v_fma_f64 v[142:143], v[199:200], s[14:15], -v[152:153]
	v_fma_f64 v[58:59], v[94:95], s[16:17], -v[58:59]
	;; [unrolled: 1-line block ×4, first 2 shown]
	v_fma_f64 v[86:87], v[86:87], s[8:9], v[48:49]
	v_fma_f64 v[88:89], v[150:151], s[12:13], -v[88:89]
	v_fma_f64 v[124:125], v[66:67], s[2:3], v[74:75]
	v_fma_f64 v[74:75], v[66:67], s[2:3], v[92:93]
	v_fma_f64 v[66:67], v[66:67], s[2:3], v[76:77]
	v_fma_f64 v[144:145], v[56:57], s[2:3], v[148:149]
	v_fma_f64 v[148:149], v[70:71], s[2:3], v[156:157]
	v_fma_f64 v[150:151], v[70:71], s[2:3], v[164:165]
	v_fma_f64 v[92:93], v[56:57], s[2:3], v[158:159]
	v_fma_f64 v[70:71], v[70:71], s[2:3], v[108:109]
	v_add_nc_u32_e32 v184, 0x1b0, v190
	v_add_f64 v[108:109], v[90:91], v[62:63]
	v_add_f64 v[76:77], v[146:147], v[62:63]
	;; [unrolled: 1-line block ×7, first 2 shown]
	v_fma_f64 v[56:57], v[56:57], s[2:3], v[120:121]
	v_add_f64 v[120:121], v[84:85], v[72:73]
	v_add_f64 v[36:37], v[36:37], v[112:113]
	v_fma_f64 v[152:153], v[78:79], s[2:3], v[122:123]
	v_fma_f64 v[106:107], v[34:35], s[2:3], v[106:107]
	v_fma_f64 v[160:161], v[78:79], s[2:3], v[80:81]
	v_lshlrev_b64 v[102:103], 4, v[184:185]
	v_fma_f64 v[122:123], v[34:35], s[2:3], v[128:129]
	v_add_co_u32 v126, s1, v179, v104
	v_add_f64 v[134:135], v[134:135], v[60:61]
	v_add_f64 v[130:131], v[130:131], v[60:61]
	v_fma_f64 v[132:133], v[64:65], s[2:3], v[132:133]
	v_add_f64 v[136:137], v[136:137], v[114:115]
	v_fma_f64 v[140:141], v[64:65], s[2:3], v[140:141]
	v_fma_f64 v[64:65], v[64:65], s[2:3], v[142:143]
	v_add_f64 v[142:143], v[58:59], v[114:115]
	v_fma_f64 v[128:129], v[34:35], s[2:3], v[98:99]
	v_add_f64 v[60:61], v[110:111], v[60:61]
	v_add_f64 v[110:111], v[94:95], v[114:115]
	;; [unrolled: 1-line block ×3, first 2 shown]
	v_fma_f64 v[158:159], v[78:79], s[2:3], v[88:89]
	v_add_f64 v[164:165], v[82:83], v[86:87]
	v_add_f64 v[168:169], v[100:101], v[86:87]
	v_add_nc_u32_e32 v184, 0x288, v190
	v_add_co_ci_u32_e64 v127, s1, v196, v105, s1
	v_add_co_u32 v170, s1, v179, v102
	s_delay_alu instid0(VALU_DEP_1)
	v_add_co_ci_u32_e64 v171, s1, v196, v103, s1
	v_add_f64 v[34:35], v[124:125], v[108:109]
	v_add_f64 v[58:59], v[74:75], v[76:77]
	v_add_f64 v[72:73], v[76:77], -v[74:75]
	v_add_f64 v[76:77], v[144:145], v[96:97]
	v_add_f64 v[96:97], v[96:97], -v[144:145]
	;; [unrolled: 2-line block ×3, first 2 shown]
	v_add_f64 v[66:67], v[66:67], v[90:91]
	v_add_f64 v[80:81], v[92:93], v[24:25]
	v_add_f64 v[92:93], v[24:25], -v[92:93]
	v_add_f64 v[90:91], v[150:151], v[32:33]
	v_add_f64 v[88:89], v[56:57], v[120:121]
	v_add_f64 v[86:87], v[36:37], -v[70:71]
	v_add_f64 v[84:85], v[120:121], -v[56:57]
	v_add_f64 v[82:83], v[70:71], v[36:37]
	v_add_f64 v[78:79], v[32:33], -v[150:151]
	v_add_f64 v[74:75], v[118:119], -v[148:149]
	v_add_f64 v[100:101], v[108:109], -v[124:125]
	v_add_f64 v[108:109], v[122:123], v[130:131]
	v_add_f64 v[120:121], v[130:131], -v[122:123]
	v_add_f64 v[124:125], v[134:135], -v[106:107]
	v_add_f64 v[122:123], v[132:133], v[136:137]
	v_add_f64 v[104:105], v[106:107], v[134:135]
	;; [unrolled: 1-line block ×3, first 2 shown]
	v_add_f64 v[106:107], v[142:143], -v[140:141]
	v_add_f64 v[116:117], v[128:129], v[60:61]
	v_add_f64 v[114:115], v[110:111], -v[64:65]
	v_add_f64 v[112:113], v[60:61], -v[128:129]
	v_add_f64 v[110:111], v[64:65], v[110:111]
	v_add_f64 v[102:103], v[136:137], -v[132:133]
	v_lshlrev_b64 v[146:147], 4, v[184:185]
	v_add_nc_u32_e32 v184, 0x360, v190
	v_add_f64 v[98:99], v[152:153], v[156:157]
	v_add_f64 v[70:71], v[158:159], v[164:165]
	v_add_f64 v[64:65], v[168:169], -v[160:161]
	v_add_f64 v[60:61], v[160:161], v[168:169]
	v_add_f64 v[56:57], v[164:165], -v[158:159]
	v_lshlrev_b64 v[172:173], 4, v[184:185]
	v_add_nc_u32_e32 v184, 0x438, v190
	v_add_f64 v[32:33], v[156:157], -v[152:153]
	v_add_co_u32 v24, s1, v179, v146
	s_delay_alu instid0(VALU_DEP_1) | instskip(NEXT) | instid1(VALU_DEP_4)
	v_add_co_ci_u32_e64 v25, s1, v196, v147, s1
	v_lshlrev_b64 v[36:37], 4, v[184:185]
	v_add_nc_u32_e32 v184, 0x510, v190
	v_add_co_u32 v128, s1, v179, v172
	s_delay_alu instid0(VALU_DEP_1) | instskip(NEXT) | instid1(VALU_DEP_3)
	v_add_co_ci_u32_e64 v129, s1, v196, v173, s1
	v_lshlrev_b64 v[130:131], 4, v[184:185]
	v_add_co_u32 v36, s1, v179, v36
	s_delay_alu instid0(VALU_DEP_1) | instskip(NEXT) | instid1(VALU_DEP_3)
	v_add_co_ci_u32_e64 v37, s1, v196, v37, s1
	v_add_co_u32 v130, s1, v179, v130
	s_delay_alu instid0(VALU_DEP_1)
	v_add_co_ci_u32_e64 v131, s1, v196, v131, s1
	s_clause 0x14
	global_store_b128 v[177:178], v[52:55], off
	global_store_b128 v[177:178], v[94:97], off offset:3456
	global_store_b128 v[192:193], v[90:93], off offset:2816
	;; [unrolled: 1-line block ×6, first 2 shown]
	global_store_b128 v[174:175], v[26:29], off
	global_store_b128 v[68:69], v[122:125], off
	;; [unrolled: 1-line block ×14, first 2 shown]
	s_and_b32 exec_lo, exec_lo, vcc_lo
	s_cbranch_execz .LBB0_20
; %bb.19:
	v_subrev_nc_u32_e32 v24, 27, v194
	v_mov_b32_e32 v177, v185
	s_delay_alu instid0(VALU_DEP_2) | instskip(NEXT) | instid1(VALU_DEP_1)
	v_cndmask_b32_e64 v24, v24, v195, s0
	v_mul_i32_i24_e32 v184, 6, v24
	s_delay_alu instid0(VALU_DEP_1) | instskip(SKIP_1) | instid1(VALU_DEP_2)
	v_lshlrev_b64 v[24:25], 4, v[184:185]
	v_add_nc_u32_e32 v184, 0x195, v194
	v_add_co_u32 v44, vcc_lo, s4, v24
	s_delay_alu instid0(VALU_DEP_3)
	v_add_co_ci_u32_e32 v45, vcc_lo, s5, v25, vcc_lo
	s_clause 0x5
	global_load_b128 v[24:27], v[44:45], off offset:3424
	global_load_b128 v[28:31], v[44:45], off offset:3440
	;; [unrolled: 1-line block ×6, first 2 shown]
	s_waitcnt vmcnt(5)
	v_mul_f64 v[48:49], v[14:15], v[26:27]
	v_mul_f64 v[26:27], v[2:3], v[26:27]
	s_waitcnt vmcnt(4)
	v_mul_f64 v[50:51], v[16:17], v[30:31]
	v_mul_f64 v[30:31], v[4:5], v[30:31]
	;; [unrolled: 3-line block ×6, first 2 shown]
	v_fma_f64 v[2:3], v[2:3], v[24:25], v[48:49]
	v_fma_f64 v[14:15], v[14:15], v[24:25], -v[26:27]
	v_fma_f64 v[4:5], v[4:5], v[28:29], v[50:51]
	v_fma_f64 v[16:17], v[16:17], v[28:29], -v[30:31]
	;; [unrolled: 2-line block ×6, first 2 shown]
	v_add_f64 v[28:29], v[2:3], v[24:25]
	v_add_f64 v[30:31], v[14:15], v[26:27]
	;; [unrolled: 1-line block ×4, first 2 shown]
	v_add_f64 v[4:5], v[4:5], -v[10:11]
	v_add_f64 v[10:11], v[16:17], -v[22:23]
	v_add_f64 v[16:17], v[6:7], v[8:9]
	v_add_f64 v[22:23], v[18:19], v[20:21]
	v_add_f64 v[6:7], v[8:9], -v[6:7]
	v_add_f64 v[8:9], v[20:21], -v[18:19]
	;; [unrolled: 1-line block ×4, first 2 shown]
	v_add_f64 v[2:3], v[32:33], v[28:29]
	v_add_f64 v[20:21], v[34:35], v[30:31]
	v_add_f64 v[24:25], v[28:29], -v[16:17]
	v_add_f64 v[26:27], v[30:31], -v[22:23]
	;; [unrolled: 1-line block ×6, first 2 shown]
	v_add_f64 v[4:5], v[6:7], v[4:5]
	v_add_f64 v[10:11], v[8:9], v[10:11]
	v_add_f64 v[6:7], v[18:19], -v[6:7]
	v_add_f64 v[8:9], v[14:15], -v[8:9]
	v_add_f64 v[44:45], v[16:17], v[2:3]
	v_add_f64 v[20:21], v[22:23], v[20:21]
	v_add_f64 v[16:17], v[16:17], -v[32:33]
	v_add_f64 v[22:23], v[22:23], -v[34:35]
	v_mul_f64 v[24:25], v[24:25], s[24:25]
	v_mul_f64 v[26:27], v[26:27], s[24:25]
	v_mul_f64 v[36:37], v[36:37], s[20:21]
	v_mul_f64 v[38:39], v[38:39], s[20:21]
	v_mul_f64 v[46:47], v[40:41], s[14:15]
	v_mul_f64 v[48:49], v[42:43], s[14:15]
	v_add_f64 v[4:5], v[4:5], v[18:19]
	v_add_f64 v[10:11], v[10:11], v[14:15]
	;; [unrolled: 1-line block ×4, first 2 shown]
	v_add_f64 v[12:13], v[32:33], -v[28:29]
	v_add_f64 v[28:29], v[34:35], -v[30:31]
	v_mul_f64 v[30:31], v[16:17], s[18:19]
	v_mul_f64 v[32:33], v[22:23], s[18:19]
	v_fma_f64 v[14:15], v[16:17], s[18:19], v[24:25]
	v_fma_f64 v[16:17], v[22:23], s[18:19], v[26:27]
	;; [unrolled: 1-line block ×4, first 2 shown]
	v_fma_f64 v[34:35], v[40:41], s[14:15], -v[36:37]
	v_fma_f64 v[36:37], v[42:43], s[14:15], -v[38:39]
	;; [unrolled: 1-line block ×4, first 2 shown]
	v_fma_f64 v[38:39], v[44:45], s[8:9], v[0:1]
	v_fma_f64 v[20:21], v[20:21], s[8:9], v[2:3]
	v_fma_f64 v[24:25], v[12:13], s[16:17], -v[24:25]
	v_fma_f64 v[26:27], v[28:29], s[16:17], -v[26:27]
	;; [unrolled: 1-line block ×4, first 2 shown]
	v_fma_f64 v[30:31], v[4:5], s[2:3], v[18:19]
	v_fma_f64 v[32:33], v[10:11], s[2:3], v[22:23]
	;; [unrolled: 1-line block ×6, first 2 shown]
	v_lshlrev_b64 v[4:5], 4, v[176:177]
	v_add_f64 v[40:41], v[14:15], v[38:39]
	v_add_f64 v[42:43], v[16:17], v[20:21]
	;; [unrolled: 1-line block ×6, first 2 shown]
	v_add_co_u32 v38, vcc_lo, v179, v4
	v_add_co_ci_u32_e32 v39, vcc_lo, v196, v5, vcc_lo
	v_lshlrev_b64 v[28:29], 4, v[184:185]
	v_add_nc_u32_e32 v184, 0x26d, v194
	s_delay_alu instid0(VALU_DEP_1) | instskip(SKIP_1) | instid1(VALU_DEP_4)
	v_lshlrev_b64 v[44:45], 4, v[184:185]
	v_add_nc_u32_e32 v184, 0x345, v194
	v_add_co_u32 v28, vcc_lo, v179, v28
	v_add_co_ci_u32_e32 v29, vcc_lo, v196, v29, vcc_lo
	v_add_f64 v[4:5], v[32:33], v[40:41]
	v_add_f64 v[6:7], v[42:43], -v[30:31]
	v_add_f64 v[8:9], v[36:37], v[24:25]
	v_add_f64 v[10:11], v[26:27], -v[34:35]
	v_add_f64 v[12:13], v[16:17], -v[22:23]
	v_add_f64 v[14:15], v[18:19], v[20:21]
	v_add_f64 v[16:17], v[22:23], v[16:17]
	v_add_f64 v[18:19], v[20:21], -v[18:19]
	v_add_f64 v[20:21], v[24:25], -v[36:37]
	v_add_f64 v[22:23], v[34:35], v[26:27]
	v_add_f64 v[24:25], v[40:41], -v[32:33]
	v_add_f64 v[26:27], v[30:31], v[42:43]
	v_lshlrev_b64 v[30:31], 4, v[184:185]
	v_add_nc_u32_e32 v184, 0x41d, v194
	v_add_co_u32 v32, vcc_lo, v179, v44
	v_add_co_ci_u32_e32 v33, vcc_lo, v196, v45, vcc_lo
	s_delay_alu instid0(VALU_DEP_3) | instskip(SKIP_3) | instid1(VALU_DEP_3)
	v_lshlrev_b64 v[34:35], 4, v[184:185]
	v_add_nc_u32_e32 v184, 0x4f5, v194
	v_add_co_u32 v30, vcc_lo, v179, v30
	v_add_co_ci_u32_e32 v31, vcc_lo, v196, v31, vcc_lo
	v_lshlrev_b64 v[36:37], 4, v[184:185]
	v_add_nc_u32_e32 v184, 0x5cd, v194
	v_add_co_u32 v34, vcc_lo, v179, v34
	v_add_co_ci_u32_e32 v35, vcc_lo, v196, v35, vcc_lo
	s_delay_alu instid0(VALU_DEP_3) | instskip(SKIP_2) | instid1(VALU_DEP_3)
	v_lshlrev_b64 v[40:41], 4, v[184:185]
	v_add_co_u32 v36, vcc_lo, v179, v36
	v_add_co_ci_u32_e32 v37, vcc_lo, v196, v37, vcc_lo
	v_add_co_u32 v40, vcc_lo, v179, v40
	s_delay_alu instid0(VALU_DEP_4)
	v_add_co_ci_u32_e32 v41, vcc_lo, v196, v41, vcc_lo
	s_clause 0x6
	global_store_b128 v[38:39], v[0:3], off
	global_store_b128 v[28:29], v[4:7], off
	;; [unrolled: 1-line block ×7, first 2 shown]
.LBB0_20:
	s_nop 0
	s_sendmsg sendmsg(MSG_DEALLOC_VGPRS)
	s_endpgm
	.section	.rodata,"a",@progbits
	.p2align	6, 0x0
	.amdhsa_kernel fft_rtc_back_len1512_factors_2_2_2_3_3_3_7_wgs_63_tpt_63_halfLds_dp_op_CI_CI_unitstride_sbrr_dirReg
		.amdhsa_group_segment_fixed_size 0
		.amdhsa_private_segment_fixed_size 0
		.amdhsa_kernarg_size 104
		.amdhsa_user_sgpr_count 15
		.amdhsa_user_sgpr_dispatch_ptr 0
		.amdhsa_user_sgpr_queue_ptr 0
		.amdhsa_user_sgpr_kernarg_segment_ptr 1
		.amdhsa_user_sgpr_dispatch_id 0
		.amdhsa_user_sgpr_private_segment_size 0
		.amdhsa_wavefront_size32 1
		.amdhsa_uses_dynamic_stack 0
		.amdhsa_enable_private_segment 0
		.amdhsa_system_sgpr_workgroup_id_x 1
		.amdhsa_system_sgpr_workgroup_id_y 0
		.amdhsa_system_sgpr_workgroup_id_z 0
		.amdhsa_system_sgpr_workgroup_info 0
		.amdhsa_system_vgpr_workitem_id 0
		.amdhsa_next_free_vgpr 225
		.amdhsa_next_free_sgpr 27
		.amdhsa_reserve_vcc 1
		.amdhsa_float_round_mode_32 0
		.amdhsa_float_round_mode_16_64 0
		.amdhsa_float_denorm_mode_32 3
		.amdhsa_float_denorm_mode_16_64 3
		.amdhsa_dx10_clamp 1
		.amdhsa_ieee_mode 1
		.amdhsa_fp16_overflow 0
		.amdhsa_workgroup_processor_mode 1
		.amdhsa_memory_ordered 1
		.amdhsa_forward_progress 0
		.amdhsa_shared_vgpr_count 0
		.amdhsa_exception_fp_ieee_invalid_op 0
		.amdhsa_exception_fp_denorm_src 0
		.amdhsa_exception_fp_ieee_div_zero 0
		.amdhsa_exception_fp_ieee_overflow 0
		.amdhsa_exception_fp_ieee_underflow 0
		.amdhsa_exception_fp_ieee_inexact 0
		.amdhsa_exception_int_div_zero 0
	.end_amdhsa_kernel
	.text
.Lfunc_end0:
	.size	fft_rtc_back_len1512_factors_2_2_2_3_3_3_7_wgs_63_tpt_63_halfLds_dp_op_CI_CI_unitstride_sbrr_dirReg, .Lfunc_end0-fft_rtc_back_len1512_factors_2_2_2_3_3_3_7_wgs_63_tpt_63_halfLds_dp_op_CI_CI_unitstride_sbrr_dirReg
                                        ; -- End function
	.section	.AMDGPU.csdata,"",@progbits
; Kernel info:
; codeLenInByte = 19464
; NumSgprs: 29
; NumVgprs: 225
; ScratchSize: 0
; MemoryBound: 1
; FloatMode: 240
; IeeeMode: 1
; LDSByteSize: 0 bytes/workgroup (compile time only)
; SGPRBlocks: 3
; VGPRBlocks: 28
; NumSGPRsForWavesPerEU: 29
; NumVGPRsForWavesPerEU: 225
; Occupancy: 6
; WaveLimiterHint : 1
; COMPUTE_PGM_RSRC2:SCRATCH_EN: 0
; COMPUTE_PGM_RSRC2:USER_SGPR: 15
; COMPUTE_PGM_RSRC2:TRAP_HANDLER: 0
; COMPUTE_PGM_RSRC2:TGID_X_EN: 1
; COMPUTE_PGM_RSRC2:TGID_Y_EN: 0
; COMPUTE_PGM_RSRC2:TGID_Z_EN: 0
; COMPUTE_PGM_RSRC2:TIDIG_COMP_CNT: 0
	.text
	.p2alignl 7, 3214868480
	.fill 96, 4, 3214868480
	.type	__hip_cuid_c0ab5571f31a8617,@object ; @__hip_cuid_c0ab5571f31a8617
	.section	.bss,"aw",@nobits
	.globl	__hip_cuid_c0ab5571f31a8617
__hip_cuid_c0ab5571f31a8617:
	.byte	0                               ; 0x0
	.size	__hip_cuid_c0ab5571f31a8617, 1

	.ident	"AMD clang version 19.0.0git (https://github.com/RadeonOpenCompute/llvm-project roc-6.4.0 25133 c7fe45cf4b819c5991fe208aaa96edf142730f1d)"
	.section	".note.GNU-stack","",@progbits
	.addrsig
	.addrsig_sym __hip_cuid_c0ab5571f31a8617
	.amdgpu_metadata
---
amdhsa.kernels:
  - .args:
      - .actual_access:  read_only
        .address_space:  global
        .offset:         0
        .size:           8
        .value_kind:     global_buffer
      - .offset:         8
        .size:           8
        .value_kind:     by_value
      - .actual_access:  read_only
        .address_space:  global
        .offset:         16
        .size:           8
        .value_kind:     global_buffer
      - .actual_access:  read_only
        .address_space:  global
        .offset:         24
        .size:           8
        .value_kind:     global_buffer
      - .actual_access:  read_only
        .address_space:  global
        .offset:         32
        .size:           8
        .value_kind:     global_buffer
      - .offset:         40
        .size:           8
        .value_kind:     by_value
      - .actual_access:  read_only
        .address_space:  global
        .offset:         48
        .size:           8
        .value_kind:     global_buffer
      - .actual_access:  read_only
        .address_space:  global
        .offset:         56
        .size:           8
        .value_kind:     global_buffer
      - .offset:         64
        .size:           4
        .value_kind:     by_value
      - .actual_access:  read_only
        .address_space:  global
        .offset:         72
        .size:           8
        .value_kind:     global_buffer
      - .actual_access:  read_only
        .address_space:  global
        .offset:         80
        .size:           8
        .value_kind:     global_buffer
      - .actual_access:  read_only
        .address_space:  global
        .offset:         88
        .size:           8
        .value_kind:     global_buffer
      - .actual_access:  write_only
        .address_space:  global
        .offset:         96
        .size:           8
        .value_kind:     global_buffer
    .group_segment_fixed_size: 0
    .kernarg_segment_align: 8
    .kernarg_segment_size: 104
    .language:       OpenCL C
    .language_version:
      - 2
      - 0
    .max_flat_workgroup_size: 63
    .name:           fft_rtc_back_len1512_factors_2_2_2_3_3_3_7_wgs_63_tpt_63_halfLds_dp_op_CI_CI_unitstride_sbrr_dirReg
    .private_segment_fixed_size: 0
    .sgpr_count:     29
    .sgpr_spill_count: 0
    .symbol:         fft_rtc_back_len1512_factors_2_2_2_3_3_3_7_wgs_63_tpt_63_halfLds_dp_op_CI_CI_unitstride_sbrr_dirReg.kd
    .uniform_work_group_size: 1
    .uses_dynamic_stack: false
    .vgpr_count:     225
    .vgpr_spill_count: 0
    .wavefront_size: 32
    .workgroup_processor_mode: 1
amdhsa.target:   amdgcn-amd-amdhsa--gfx1100
amdhsa.version:
  - 1
  - 2
...

	.end_amdgpu_metadata
